;; amdgpu-corpus repo=ROCm/rocFFT kind=compiled arch=gfx1030 opt=O3
	.text
	.amdgcn_target "amdgcn-amd-amdhsa--gfx1030"
	.amdhsa_code_object_version 6
	.protected	bluestein_single_fwd_len819_dim1_sp_op_CI_CI ; -- Begin function bluestein_single_fwd_len819_dim1_sp_op_CI_CI
	.globl	bluestein_single_fwd_len819_dim1_sp_op_CI_CI
	.p2align	8
	.type	bluestein_single_fwd_len819_dim1_sp_op_CI_CI,@function
bluestein_single_fwd_len819_dim1_sp_op_CI_CI: ; @bluestein_single_fwd_len819_dim1_sp_op_CI_CI
; %bb.0:
	s_load_dwordx4 s[0:3], s[4:5], 0x28
	v_mul_u32_u24_e32 v1, 0x231, v0
	v_mov_b32_e32 v61, 0
	v_lshrrev_b32_e32 v1, 16, v1
	v_add_nc_u32_e32 v60, s6, v1
	s_waitcnt lgkmcnt(0)
	v_cmp_gt_u64_e32 vcc_lo, s[0:1], v[60:61]
	s_and_saveexec_b32 s0, vcc_lo
	s_cbranch_execz .LBB0_23
; %bb.1:
	s_clause 0x1
	s_load_dwordx2 s[14:15], s[4:5], 0x0
	s_load_dwordx2 s[12:13], s[4:5], 0x38
	v_mul_lo_u16 v1, 0x75, v1
	v_sub_nc_u16 v0, v0, v1
	v_and_b32_e32 v64, 0xffff, v0
	v_cmp_gt_u16_e32 vcc_lo, 0x5b, v0
	v_lshlrev_b32_e32 v63, 3, v64
	s_and_saveexec_b32 s1, vcc_lo
	s_cbranch_execz .LBB0_3
; %bb.2:
	s_load_dwordx2 s[6:7], s[4:5], 0x18
	s_waitcnt lgkmcnt(0)
	v_add_co_u32 v14, s0, s14, v63
	v_add_co_ci_u32_e64 v15, null, s15, 0, s0
	v_add_nc_u32_e32 v38, 0x400, v63
	v_add_co_u32 v12, s0, 0x800, v14
	v_add_co_ci_u32_e64 v13, s0, 0, v15, s0
	v_add_nc_u32_e32 v39, 0x800, v63
	v_add_nc_u32_e32 v40, 0x1000, v63
	s_load_dwordx4 s[8:11], s[6:7], 0x0
	s_waitcnt lgkmcnt(0)
	v_mad_u64_u32 v[0:1], null, s10, v60, 0
	v_mad_u64_u32 v[2:3], null, s8, v64, 0
	s_mul_i32 s6, s9, 0x2d8
	s_mul_hi_u32 s7, s8, 0x2d8
	s_add_i32 s7, s7, s6
	v_mad_u64_u32 v[4:5], null, s11, v60, v[1:2]
	v_mad_u64_u32 v[5:6], null, s9, v64, v[3:4]
	v_mov_b32_e32 v1, v4
	v_add_co_u32 v4, s0, 0x1000, v14
	s_clause 0x2
	global_load_dwordx2 v[6:7], v63, s[14:15]
	global_load_dwordx2 v[8:9], v63, s[14:15] offset:728
	global_load_dwordx2 v[10:11], v63, s[14:15] offset:1456
	v_lshlrev_b64 v[0:1], 3, v[0:1]
	v_mov_b32_e32 v3, v5
	v_add_co_ci_u32_e64 v5, s0, 0, v15, s0
	s_clause 0x2
	global_load_dwordx2 v[14:15], v[12:13], off offset:136
	global_load_dwordx2 v[16:17], v[12:13], off offset:864
	;; [unrolled: 1-line block ×3, first 2 shown]
	v_lshlrev_b64 v[2:3], 3, v[2:3]
	v_add_co_u32 v0, s0, s2, v0
	v_add_co_ci_u32_e64 v1, s0, s3, v1, s0
	s_mul_i32 s2, s8, 0x2d8
	v_add_co_u32 v0, s0, v0, v2
	v_add_co_ci_u32_e64 v1, s0, v1, v3, s0
	global_load_dwordx2 v[20:21], v[4:5], off offset:272
	v_add_co_u32 v2, s0, v0, s2
	v_add_co_ci_u32_e64 v3, s0, s7, v1, s0
	v_add_co_u32 v18, s0, v2, s2
	v_add_co_ci_u32_e64 v19, s0, s7, v3, s0
	s_clause 0x1
	global_load_dwordx2 v[0:1], v[0:1], off
	global_load_dwordx2 v[2:3], v[2:3], off
	v_add_co_u32 v22, s0, v18, s2
	v_add_co_ci_u32_e64 v23, s0, s7, v19, s0
	v_add_co_u32 v24, s0, v22, s2
	v_add_co_ci_u32_e64 v25, s0, s7, v23, s0
	s_clause 0x1
	global_load_dwordx2 v[18:19], v[18:19], off
	global_load_dwordx2 v[22:23], v[22:23], off
	v_add_co_u32 v26, s0, v24, s2
	v_add_co_ci_u32_e64 v27, s0, s7, v25, s0
	global_load_dwordx2 v[24:25], v[24:25], off
	v_add_co_u32 v28, s0, v26, s2
	v_add_co_ci_u32_e64 v29, s0, s7, v27, s0
	;; [unrolled: 3-line block ×4, first 2 shown]
	global_load_dwordx2 v[30:31], v[30:31], off
	s_clause 0x1
	global_load_dwordx2 v[34:35], v[4:5], off offset:1000
	global_load_dwordx2 v[4:5], v[4:5], off offset:1728
	global_load_dwordx2 v[32:33], v[32:33], off
	s_waitcnt vmcnt(10)
	v_mul_f32_e32 v37, v0, v7
	v_mul_f32_e32 v36, v1, v7
	s_waitcnt vmcnt(9)
	v_mul_f32_e32 v7, v3, v9
	v_fma_f32 v37, v1, v6, -v37
	v_mul_f32_e32 v1, v2, v9
	v_fmac_f32_e32 v36, v0, v6
	v_fmac_f32_e32 v7, v2, v8
	s_waitcnt vmcnt(8)
	v_mul_f32_e32 v6, v18, v11
	s_waitcnt vmcnt(7)
	v_mul_f32_e32 v2, v23, v15
	v_fma_f32 v8, v3, v8, -v1
	v_mul_f32_e32 v3, v22, v15
	v_mul_f32_e32 v0, v19, v11
	v_fma_f32 v1, v19, v10, -v6
	s_waitcnt vmcnt(6)
	v_mul_f32_e32 v9, v25, v17
	v_mul_f32_e32 v6, v24, v17
	v_fmac_f32_e32 v2, v22, v14
	v_fma_f32 v3, v23, v14, -v3
	v_fmac_f32_e32 v0, v18, v10
	s_waitcnt vmcnt(5)
	v_mul_f32_e32 v11, v27, v13
	v_mul_f32_e32 v14, v26, v13
	v_fmac_f32_e32 v9, v24, v16
	v_fma_f32 v10, v25, v16, -v6
	s_waitcnt vmcnt(4)
	v_mul_f32_e32 v13, v29, v21
	v_mul_f32_e32 v6, v28, v21
	v_fmac_f32_e32 v11, v26, v12
	s_waitcnt vmcnt(2)
	v_mul_f32_e32 v15, v31, v35
	v_mul_f32_e32 v16, v30, v35
	s_waitcnt vmcnt(0)
	v_mul_f32_e32 v17, v33, v5
	v_mul_f32_e32 v5, v32, v5
	v_fma_f32 v12, v27, v12, -v14
	v_fmac_f32_e32 v13, v28, v20
	v_fma_f32 v14, v29, v20, -v6
	v_fmac_f32_e32 v15, v30, v34
	;; [unrolled: 2-line block ×3, first 2 shown]
	v_fma_f32 v18, v33, v4, -v5
	ds_write2_b64 v63, v[36:37], v[7:8] offset1:91
	ds_write2_b64 v38, v[0:1], v[2:3] offset0:54 offset1:145
	ds_write2_b64 v39, v[9:10], v[11:12] offset0:108 offset1:199
	;; [unrolled: 1-line block ×3, first 2 shown]
	ds_write_b64 v63, v[17:18] offset:5824
.LBB0_3:
	s_or_b32 exec_lo, exec_lo, s1
	s_clause 0x1
	s_load_dwordx2 s[0:1], s[4:5], 0x20
	s_load_dwordx2 s[2:3], s[4:5], 0x8
	v_mov_b32_e32 v2, 0
	v_mov_b32_e32 v3, 0
	s_waitcnt lgkmcnt(0)
	s_barrier
	buffer_gl0_inv
                                        ; implicit-def: $vgpr14
                                        ; implicit-def: $vgpr16
	v_mov_b32_e32 v9, v3
	v_mov_b32_e32 v11, v3
	;; [unrolled: 1-line block ×6, first 2 shown]
	s_and_saveexec_b32 s4, vcc_lo
	s_cbranch_execz .LBB0_5
; %bb.4:
	v_add_nc_u32_e32 v4, 0x400, v63
	v_add_nc_u32_e32 v5, 0x800, v63
	;; [unrolled: 1-line block ×3, first 2 shown]
	ds_read2_b64 v[0:3], v63 offset1:91
	ds_read2_b64 v[8:11], v4 offset0:54 offset1:145
	ds_read2_b64 v[4:7], v5 offset0:108 offset1:199
	;; [unrolled: 1-line block ×3, first 2 shown]
	ds_read_b64 v[16:17], v63 offset:5824
.LBB0_5:
	s_or_b32 exec_lo, exec_lo, s4
	s_waitcnt lgkmcnt(1)
	v_sub_f32_e32 v19, v8, v14
	v_sub_f32_e32 v18, v9, v15
	s_waitcnt lgkmcnt(0)
	v_add_f32_e32 v21, v16, v2
	v_sub_f32_e32 v20, v2, v16
	v_sub_f32_e32 v16, v3, v17
	v_add_f32_e32 v17, v17, v3
	v_sub_f32_e32 v25, v10, v12
	v_sub_f32_e32 v24, v11, v13
	v_add_f32_e32 v22, v14, v8
	v_add_f32_e32 v23, v15, v9
	;; [unrolled: 1-line block ×3, first 2 shown]
	v_sub_f32_e32 v14, v4, v6
	v_sub_f32_e32 v12, v5, v7
	v_add_f32_e32 v11, v13, v11
	v_add_f32_e32 v13, v6, v4
	;; [unrolled: 1-line block ×3, first 2 shown]
	v_mul_f32_e32 v26, 0x3f7c1c5c, v19
	v_mul_f32_e32 v27, 0x3f7c1c5c, v18
	v_fmamk_f32 v2, v21, 0x3f441b7d, v0
	v_fmamk_f32 v3, v17, 0x3f441b7d, v1
	v_mul_f32_e32 v8, 0x3f248dbb, v14
	v_mul_f32_e32 v9, 0x3f248dbb, v12
	v_fmamk_f32 v28, v13, 0x3f441b7d, v0
	v_fmamk_f32 v29, v15, 0x3f441b7d, v1
	v_fmac_f32_e32 v26, 0x3f248dbb, v20
	v_fmac_f32_e32 v27, 0x3f248dbb, v16
	;; [unrolled: 1-line block ×4, first 2 shown]
	v_fma_f32 v30, 0x3f7c1c5c, v20, -v8
	v_fma_f32 v31, 0x3f7c1c5c, v16, -v9
	v_fmac_f32_e32 v28, 0x3e31d0d4, v21
	v_fmac_f32_e32 v29, 0x3e31d0d4, v17
	;; [unrolled: 1-line block ×4, first 2 shown]
	v_fmac_f32_e32 v2, -0.5, v10
	v_fmac_f32_e32 v3, -0.5, v11
	v_fmac_f32_e32 v30, 0xbf5db3d7, v25
	v_fmac_f32_e32 v31, 0xbf5db3d7, v24
	v_fmac_f32_e32 v28, -0.5, v10
	v_fmac_f32_e32 v29, -0.5, v11
	v_fmac_f32_e32 v26, 0x3eaf1d44, v14
	v_fmac_f32_e32 v27, 0x3eaf1d44, v12
	;; [unrolled: 1-line block ×8, first 2 shown]
	v_add_f32_e32 v8, v2, v27
	v_sub_f32_e32 v9, v3, v26
	v_mul_lo_u16 v65, v64, 9
	v_add_f32_e32 v2, v31, v28
	v_sub_f32_e32 v3, v29, v30
	v_fma_f32 v40, -2.0, v27, v8
	v_fma_f32 v41, 2.0, v26, v9
	v_fma_f32 v46, -2.0, v31, v2
	v_fma_f32 v47, 2.0, v30, v3
	s_barrier
	buffer_gl0_inv
	s_and_saveexec_b32 s4, vcc_lo
	s_cbranch_execz .LBB0_7
; %bb.6:
	v_mul_f32_e32 v26, 0x3f7c1c5c, v14
	v_fmamk_f32 v27, v23, 0x3f441b7d, v1
	v_mul_f32_e32 v25, 0x3f5db3d7, v25
	v_mul_f32_e32 v29, 0.5, v11
	v_add_f32_e32 v23, v17, v23
	v_fma_f32 v26, 0xbf248dbb, v19, -v26
	v_fmac_f32_e32 v27, 0x3e31d0d4, v15
	v_mul_f32_e32 v30, 0x3f7c1c5c, v12
	v_mul_f32_e32 v24, 0x3f5db3d7, v24
	v_fmamk_f32 v31, v22, 0x3f441b7d, v0
	v_add_f32_e32 v25, v25, v26
	v_sub_f32_e32 v26, v27, v29
	v_add_f32_e32 v29, v23, v11
	v_fma_f32 v27, 0xbf248dbb, v18, -v30
	v_mul_f32_e32 v28, 0.5, v10
	v_fmac_f32_e32 v25, 0x3eaf1d44, v20
	v_fmac_f32_e32 v26, 0xbf708fb2, v17
	v_add_f32_e32 v5, v29, v5
	v_add_f32_e32 v17, v24, v27
	;; [unrolled: 1-line block ×3, first 2 shown]
	v_fmac_f32_e32 v31, 0x3e31d0d4, v13
	v_sub_f32_e32 v22, v26, v25
	v_add_f32_e32 v7, v7, v5
	v_add_f32_e32 v14, v20, v14
	;; [unrolled: 1-line block ×3, first 2 shown]
	v_sub_f32_e32 v24, v31, v28
	v_add_f32_e32 v11, v1, v11
	v_add_f32_e32 v7, v1, v7
	;; [unrolled: 1-line block ×7, first 2 shown]
	v_fmac_f32_e32 v17, 0x3eaf1d44, v16
	v_fmac_f32_e32 v24, 0xbf708fb2, v21
	v_sub_f32_e32 v14, v14, v19
	v_fmac_f32_e32 v11, -0.5, v1
	v_sub_f32_e32 v1, v12, v18
	v_fmac_f32_e32 v10, -0.5, v13
	v_add_f32_e32 v4, v6, v4
	v_mov_b32_e32 v13, 3
	v_add_f32_e32 v21, v24, v17
	v_mul_f32_e32 v12, 0x3f5db3d7, v14
	v_fmac_f32_e32 v11, 0xbf5db3d7, v14
	v_mul_f32_e32 v14, 0x3f5db3d7, v1
	v_fmac_f32_e32 v10, 0x3f5db3d7, v1
	v_add_f32_e32 v6, v0, v4
	v_lshlrev_b32_sdwa v13, v13, v65 dst_sel:DWORD dst_unused:UNUSED_PAD src0_sel:DWORD src1_sel:WORD_0
	v_fma_f32 v5, 2.0, v25, v22
	v_fma_f32 v4, -2.0, v17, v21
	v_fma_f32 v1, 2.0, v12, v11
	v_fma_f32 v0, -2.0, v14, v10
	ds_write2_b64 v13, v[6:7], v[8:9] offset1:1
	ds_write2_b64 v13, v[2:3], v[10:11] offset0:2 offset1:3
	ds_write2_b64 v13, v[21:22], v[4:5] offset0:4 offset1:5
	;; [unrolled: 1-line block ×3, first 2 shown]
	ds_write_b64 v13, v[40:41] offset:64
.LBB0_7:
	s_or_b32 exec_lo, exec_lo, s4
	v_and_b32_e32 v0, 0xff, v64
	s_load_dwordx4 s[4:7], s[0:1], 0x0
	s_waitcnt lgkmcnt(0)
	s_barrier
	buffer_gl0_inv
	v_mul_lo_u16 v0, v0, 57
	v_add_nc_u32_e32 v1, 0xc00, v63
	v_mov_b32_e32 v30, 63
	v_cmp_gt_u16_e64 s0, 63, v64
                                        ; implicit-def: $vgpr48
                                        ; implicit-def: $vgpr61
	v_lshrrev_b16 v28, 9, v0
	v_mul_lo_u16 v0, v28, 9
	v_mul_u32_u24_sdwa v28, v28, v30 dst_sel:DWORD dst_unused:UNUSED_PAD src0_sel:WORD_0 src1_sel:DWORD
	v_sub_nc_u16 v0, v64, v0
	v_and_b32_e32 v29, 0xff, v0
	v_mul_u32_u24_e32 v0, 6, v29
	v_add_lshl_u32 v66, v28, v29, 3
	v_lshlrev_b32_e32 v0, 3, v0
	s_clause 0x2
	global_load_dwordx4 v[16:19], v0, s[2:3]
	global_load_dwordx4 v[12:15], v0, s[2:3] offset:16
	global_load_dwordx4 v[8:11], v0, s[2:3] offset:32
	v_add_nc_u32_e32 v0, 0x400, v63
	ds_read2_b64 v[2:5], v63 offset1:117
	ds_read2_b64 v[20:23], v0 offset0:106 offset1:223
	ds_read2_b64 v[24:27], v1 offset0:84 offset1:201
	ds_read_b64 v[6:7], v63 offset:5616
	s_waitcnt vmcnt(0) lgkmcnt(0)
	s_barrier
	buffer_gl0_inv
	v_mul_f32_e32 v28, v5, v17
	v_mul_f32_e32 v29, v4, v17
	;; [unrolled: 1-line block ×12, first 2 shown]
	v_fma_f32 v4, v4, v16, -v28
	v_fmac_f32_e32 v29, v5, v16
	v_fma_f32 v5, v20, v18, -v30
	v_fmac_f32_e32 v31, v21, v18
	;; [unrolled: 2-line block ×6, first 2 shown]
	v_add_f32_e32 v22, v4, v6
	v_add_f32_e32 v23, v29, v39
	;; [unrolled: 1-line block ×4, first 2 shown]
	v_sub_f32_e32 v4, v4, v6
	v_sub_f32_e32 v6, v29, v39
	;; [unrolled: 1-line block ×4, first 2 shown]
	v_add_f32_e32 v26, v20, v21
	v_add_f32_e32 v27, v33, v35
	v_sub_f32_e32 v20, v21, v20
	v_sub_f32_e32 v21, v35, v33
	v_add_f32_e32 v28, v24, v22
	v_add_f32_e32 v29, v25, v23
	v_sub_f32_e32 v30, v24, v22
	v_sub_f32_e32 v31, v25, v23
	;; [unrolled: 1-line block ×6, first 2 shown]
	v_add_f32_e32 v32, v20, v5
	v_add_f32_e32 v33, v21, v7
	v_sub_f32_e32 v34, v20, v5
	v_sub_f32_e32 v35, v21, v7
	;; [unrolled: 1-line block ×4, first 2 shown]
	v_add_f32_e32 v26, v26, v28
	v_add_f32_e32 v27, v27, v29
	v_sub_f32_e32 v20, v4, v20
	v_sub_f32_e32 v21, v6, v21
	v_add_f32_e32 v4, v32, v4
	v_add_f32_e32 v6, v33, v6
	v_mul_f32_e32 v22, 0x3f4a47b2, v22
	v_mul_f32_e32 v23, 0x3f4a47b2, v23
	;; [unrolled: 1-line block ×8, first 2 shown]
	v_add_f32_e32 v36, v2, v26
	v_add_f32_e32 v37, v3, v27
	v_fmamk_f32 v2, v24, 0x3d64c772, v22
	v_fmamk_f32 v3, v25, 0x3d64c772, v23
	v_fma_f32 v24, 0x3f3bfb3b, v30, -v28
	v_fma_f32 v25, 0x3f3bfb3b, v31, -v29
	;; [unrolled: 1-line block ×4, first 2 shown]
	v_fmamk_f32 v28, v20, 0x3eae86e6, v32
	v_fmamk_f32 v29, v21, 0x3eae86e6, v33
	v_fma_f32 v5, 0x3f5ff5aa, v5, -v32
	v_fma_f32 v7, 0x3f5ff5aa, v7, -v33
	;; [unrolled: 1-line block ×4, first 2 shown]
	v_fmamk_f32 v26, v26, 0xbf955555, v36
	v_fmamk_f32 v27, v27, 0xbf955555, v37
	v_fmac_f32_e32 v28, 0x3ee1c552, v4
	v_fmac_f32_e32 v29, 0x3ee1c552, v6
	;; [unrolled: 1-line block ×6, first 2 shown]
	v_add_f32_e32 v2, v2, v26
	v_add_f32_e32 v3, v3, v27
	;; [unrolled: 1-line block ×7, first 2 shown]
	v_sub_f32_e32 v39, v3, v28
	v_add_f32_e32 v52, v21, v6
	v_sub_f32_e32 v53, v22, v20
	v_sub_f32_e32 v54, v4, v7
	v_add_f32_e32 v55, v5, v23
	v_add_f32_e32 v56, v7, v4
	v_sub_f32_e32 v57, v23, v5
	v_sub_f32_e32 v58, v6, v21
	v_add_f32_e32 v59, v20, v22
	v_sub_f32_e32 v44, v2, v29
	v_add_f32_e32 v45, v28, v3
	ds_write2_b64 v66, v[36:37], v[38:39] offset1:9
	ds_write2_b64 v66, v[52:53], v[54:55] offset0:18 offset1:27
	ds_write2_b64 v66, v[56:57], v[58:59] offset0:36 offset1:45
	ds_write_b64 v66, v[44:45] offset:432
	s_waitcnt lgkmcnt(0)
	s_barrier
	buffer_gl0_inv
	s_and_saveexec_b32 s1, s0
	s_cbranch_execz .LBB0_9
; %bb.8:
	v_add_nc_u32_e32 v2, 0x800, v63
	v_add_nc_u32_e32 v3, 0x1000, v63
	ds_read2_b64 v[36:39], v63 offset1:63
	ds_read2_b64 v[52:55], v63 offset0:126 offset1:189
	ds_read2_b64 v[56:59], v0 offset0:124 offset1:187
	;; [unrolled: 1-line block ×5, first 2 shown]
	ds_read_b64 v[61:62], v63 offset:6048
.LBB0_9:
	s_or_b32 exec_lo, exec_lo, s1
	v_subrev_nc_u32_e32 v0, 63, v64
	v_cndmask_b32_e64 v0, v0, v64, s0
	v_mul_i32_i24_e32 v1, 0x60, v0
	v_mul_hi_i32_i24_e32 v0, 0x60, v0
	v_add_co_u32 v32, s1, s2, v1
	v_add_co_ci_u32_e64 v33, s1, s3, v0, s1
	s_clause 0x5
	global_load_dwordx4 v[28:31], v[32:33], off offset:432
	global_load_dwordx4 v[20:23], v[32:33], off offset:448
	;; [unrolled: 1-line block ×6, first 2 shown]
	s_waitcnt vmcnt(5) lgkmcnt(6)
	v_mul_f32_e32 v77, v39, v29
	v_mul_f32_e32 v78, v38, v29
	s_waitcnt lgkmcnt(5)
	v_mul_f32_e32 v79, v53, v31
	s_waitcnt vmcnt(3) lgkmcnt(3)
	v_mul_f32_e32 v85, v45, v7
	s_waitcnt vmcnt(2) lgkmcnt(2)
	;; [unrolled: 2-line block ×3, first 2 shown]
	v_mul_f32_e32 v68, v61, v35
	v_mul_f32_e32 v92, v62, v35
	;; [unrolled: 1-line block ×9, first 2 shown]
	v_fma_f32 v88, v52, v30, -v79
	v_fma_f32 v52, v44, v6, -v85
	v_fmac_f32_e32 v70, v41, v2
	v_fmac_f32_e32 v78, v39, v28
	;; [unrolled: 1-line block ×3, first 2 shown]
	v_fma_f32 v41, v38, v28, -v77
	v_fma_f32 v44, v61, v34, -v92
	v_mul_f32_e32 v80, v55, v21
	v_mul_f32_e32 v89, v43, v25
	;; [unrolled: 1-line block ×4, first 2 shown]
	v_fmac_f32_e32 v83, v53, v30
	v_fmac_f32_e32 v76, v55, v20
	;; [unrolled: 1-line block ×3, first 2 shown]
	v_fma_f32 v39, v50, v32, -v91
	v_fmac_f32_e32 v71, v51, v32
	v_sub_f32_e32 v51, v78, v68
	v_sub_f32_e32 v55, v41, v44
	v_add_f32_e32 v49, v36, v41
	v_mul_f32_e32 v82, v57, v23
	v_mul_f32_e32 v74, v58, v5
	;; [unrolled: 1-line block ×3, first 2 shown]
	v_fma_f32 v81, v54, v20, -v80
	v_fmac_f32_e32 v73, v45, v6
	v_fma_f32 v45, v40, v2, -v87
	v_fma_f32 v40, v42, v24, -v89
	v_fmac_f32_e32 v69, v43, v24
	v_fma_f32 v38, v48, v26, -v90
	v_add_f32_e32 v42, v41, v44
	v_add_f32_e32 v43, v78, v68
	v_sub_f32_e32 v50, v83, v71
	v_sub_f32_e32 v41, v88, v39
	v_mul_f32_e32 v97, 0xbeedf032, v51
	v_mul_f32_e32 v98, 0xbf52af12, v51
	;; [unrolled: 1-line block ×12, first 2 shown]
	v_add_f32_e32 v49, v49, v88
	v_mul_f32_e32 v75, v56, v23
	v_mul_f32_e32 v84, v59, v5
	;; [unrolled: 1-line block ×3, first 2 shown]
	v_fma_f32 v54, v56, v22, -v82
	v_fmac_f32_e32 v74, v59, v4
	v_fmac_f32_e32 v72, v47, v0
	v_add_f32_e32 v48, v37, v78
	v_add_f32_e32 v47, v88, v39
	;; [unrolled: 1-line block ×3, first 2 shown]
	v_sub_f32_e32 v59, v76, v67
	v_sub_f32_e32 v77, v81, v38
	v_mul_f32_e32 v109, 0xbf52af12, v50
	v_mul_f32_e32 v110, 0xbf52af12, v41
	;; [unrolled: 1-line block ×3, first 2 shown]
	v_fma_f32 v127, 0x3f62ad3f, v42, -v97
	v_fmac_f32_e32 v97, 0x3f62ad3f, v42
	v_fma_f32 v128, 0x3f116cb1, v42, -v98
	v_fmac_f32_e32 v98, 0x3f116cb1, v42
	;; [unrolled: 2-line block ×6, first 2 shown]
	v_fmamk_f32 v42, v43, 0x3f62ad3f, v103
	v_fma_f32 v103, 0x3f62ad3f, v43, -v103
	v_fmamk_f32 v133, v43, 0x3f116cb1, v104
	v_fma_f32 v104, 0x3f116cb1, v43, -v104
	;; [unrolled: 2-line block ×6, first 2 shown]
	v_add_f32_e32 v49, v49, v81
	v_fmac_f32_e32 v75, v57, v22
	v_fma_f32 v53, v58, v4, -v84
	v_add_f32_e32 v57, v81, v38
	v_add_f32_e32 v58, v76, v67
	;; [unrolled: 1-line block ×3, first 2 shown]
	v_sub_f32_e32 v82, v54, v40
	v_mul_f32_e32 v111, 0xbf7e222b, v59
	v_mul_f32_e32 v112, 0xbf7e222b, v77
	;; [unrolled: 1-line block ×4, first 2 shown]
	v_add_f32_e32 v48, v48, v83
	v_add_f32_e32 v127, v36, v127
	;; [unrolled: 1-line block ×16, first 2 shown]
	v_fma_f32 v43, 0x3f116cb1, v47, -v109
	v_fmac_f32_e32 v109, 0x3f116cb1, v47
	v_fma_f32 v81, 0x3df6dbef, v47, -v88
	v_fmac_f32_e32 v88, 0x3df6dbef, v47
	v_add_f32_e32 v49, v49, v54
	v_fmamk_f32 v54, v56, 0x3f116cb1, v110
	v_sub_f32_e32 v80, v75, v69
	v_add_f32_e32 v84, v53, v45
	v_sub_f32_e32 v87, v53, v45
	v_mul_f32_e32 v115, 0xbe750f2a, v59
	v_mul_f32_e32 v116, 0xbe750f2a, v77
	;; [unrolled: 1-line block ×6, first 2 shown]
	v_add_f32_e32 v128, v36, v128
	v_add_f32_e32 v98, v36, v98
	;; [unrolled: 1-line block ×9, first 2 shown]
	v_fma_f32 v102, 0xbeb58ec6, v47, -v113
	v_fmac_f32_e32 v113, 0xbeb58ec6, v47
	v_add_f32_e32 v48, v48, v76
	v_add_f32_e32 v43, v43, v127
	v_fma_f32 v110, 0x3f116cb1, v56, -v110
	v_add_f32_e32 v42, v54, v42
	v_add_f32_e32 v97, v109, v97
	v_fmamk_f32 v109, v56, 0xbeb58ec6, v114
	v_fma_f32 v114, 0xbeb58ec6, v56, -v114
	v_add_f32_e32 v49, v49, v53
	v_fma_f32 v53, 0x3df6dbef, v57, -v111
	v_add_f32_e32 v88, v88, v101
	v_fmamk_f32 v101, v58, 0x3df6dbef, v112
	v_fma_f32 v46, v46, v0, -v86
	v_add_f32_e32 v79, v75, v69
	v_mul_f32_e32 v117, 0x3f29c268, v80
	v_mul_f32_e32 v122, 0x3f6f5d39, v59
	v_fma_f32 v138, 0xbf788fa5, v47, -v121
	v_add_f32_e32 v48, v48, v75
	v_mul_f32_e32 v75, 0x3f6f5d39, v77
	v_add_f32_e32 v103, v110, v103
	v_add_f32_e32 v102, v102, v128
	;; [unrolled: 1-line block ×3, first 2 shown]
	v_fmamk_f32 v113, v56, 0xbf788fa5, v50
	v_add_f32_e32 v104, v114, v104
	v_add_f32_e32 v43, v53, v43
	v_fma_f32 v53, 0x3df6dbef, v58, -v112
	v_add_f32_e32 v42, v101, v42
	v_fma_f32 v101, 0xbf788fa5, v57, -v115
	v_fmac_f32_e32 v115, 0xbf788fa5, v57
	v_fma_f32 v112, 0xbf788fa5, v58, -v116
	v_sub_f32_e32 v91, v52, v46
	v_add_f32_e32 v90, v52, v46
	v_mul_f32_e32 v118, 0x3f29c268, v82
	v_mul_f32_e32 v123, 0x3eedf032, v80
	;; [unrolled: 1-line block ×3, first 2 shown]
	v_fmac_f32_e32 v121, 0xbf788fa5, v47
	v_fma_f32 v76, 0xbf3f9e67, v47, -v83
	v_fmac_f32_e32 v83, 0xbf3f9e67, v47
	v_fma_f32 v139, 0x3f62ad3f, v47, -v126
	v_fmac_f32_e32 v126, 0x3f62ad3f, v47
	v_mul_f32_e32 v47, 0x3f7e222b, v41
	v_mul_f32_e32 v110, 0x3eedf032, v59
	v_add_f32_e32 v129, v138, v129
	v_fma_f32 v50, 0xbf788fa5, v56, -v50
	v_add_f32_e32 v113, v113, v134
	v_add_f32_e32 v48, v48, v74
	;; [unrolled: 1-line block ×3, first 2 shown]
	v_fmamk_f32 v103, v58, 0xbf788fa5, v116
	v_add_f32_e32 v101, v101, v102
	v_add_f32_e32 v98, v115, v98
	v_fma_f32 v115, 0xbeb58ec6, v57, -v122
	v_mul_f32_e32 v116, 0x3eedf032, v41
	v_add_f32_e32 v41, v112, v104
	v_fmamk_f32 v104, v58, 0xbeb58ec6, v75
	v_add_f32_e32 v49, v49, v52
	v_fma_f32 v52, 0xbf3f9e67, v78, -v117
	v_sub_f32_e32 v86, v74, v70
	v_sub_f32_e32 v92, v73, v72
	v_add_f32_e32 v89, v73, v72
	v_mul_f32_e32 v61, 0xbf6f5d39, v80
	v_mul_f32_e32 v94, 0xbf6f5d39, v82
	;; [unrolled: 1-line block ×5, first 2 shown]
	v_add_f32_e32 v99, v121, v99
	v_fmamk_f32 v121, v56, 0xbf3f9e67, v108
	v_add_f32_e32 v50, v50, v105
	v_add_f32_e32 v76, v76, v130
	v_fmac_f32_e32 v122, 0xbeb58ec6, v57
	v_add_f32_e32 v112, v115, v129
	v_fma_f32 v75, 0xbeb58ec6, v58, -v75
	v_add_f32_e32 v104, v104, v113
	v_fma_f32 v113, 0x3f62ad3f, v57, -v110
	v_add_f32_e32 v48, v48, v73
	v_fmamk_f32 v73, v79, 0xbf3f9e67, v118
	v_fma_f32 v118, 0xbf3f9e67, v79, -v118
	v_add_f32_e32 v52, v52, v101
	v_fma_f32 v101, 0x3f62ad3f, v78, -v123
	v_add_f32_e32 v85, v74, v70
	v_mul_f32_e32 v55, 0xbf29c268, v86
	v_mul_f32_e32 v119, 0x3f7e222b, v87
	;; [unrolled: 1-line block ×3, first 2 shown]
	v_add_f32_e32 v109, v109, v133
	v_mul_f32_e32 v133, 0xbf52af12, v59
	v_add_f32_e32 v121, v121, v135
	v_add_f32_e32 v83, v83, v100
	v_fma_f32 v115, 0xbeb58ec6, v78, -v61
	v_add_f32_e32 v99, v122, v99
	v_fmamk_f32 v122, v79, 0xbeb58ec6, v94
	v_add_f32_e32 v50, v75, v50
	v_fmamk_f32 v75, v58, 0x3f62ad3f, v128
	v_fmac_f32_e32 v110, 0x3f62ad3f, v57
	v_add_f32_e32 v76, v113, v76
	v_add_f32_e32 v41, v118, v41
	v_fmamk_f32 v118, v79, 0x3f62ad3f, v127
	v_fma_f32 v127, 0x3f62ad3f, v79, -v127
	v_add_f32_e32 v101, v101, v112
	v_fma_f32 v112, 0x3df6dbef, v78, -v134
	v_add_f32_e32 v46, v49, v46
	v_add_f32_e32 v48, v48, v72
	v_mul_f32_e32 v51, 0xbe750f2a, v92
	v_mul_f32_e32 v120, 0x3eedf032, v91
	;; [unrolled: 1-line block ×5, first 2 shown]
	v_fma_f32 v108, 0xbf3f9e67, v56, -v108
	v_fmamk_f32 v100, v56, 0x3df6dbef, v47
	v_add_f32_e32 v81, v81, v131
	v_fma_f32 v113, 0xbf3f9e67, v84, -v55
	v_add_f32_e32 v75, v75, v121
	v_fma_f32 v121, 0x3f116cb1, v57, -v133
	;; [unrolled: 2-line block ×3, first 2 shown]
	v_add_f32_e32 v43, v115, v43
	v_add_f32_e32 v42, v122, v42
	v_fmamk_f32 v122, v85, 0x3df6dbef, v119
	v_fma_f32 v119, 0x3df6dbef, v85, -v119
	v_fmac_f32_e32 v134, 0x3df6dbef, v78
	v_add_f32_e32 v50, v127, v50
	v_add_f32_e32 v76, v112, v76
	v_fmamk_f32 v112, v85, 0x3f116cb1, v54
	v_fma_f32 v54, 0x3f116cb1, v85, -v54
	v_add_f32_e32 v45, v46, v45
	v_add_f32_e32 v48, v48, v70
	v_mul_f32_e32 v93, 0xbf29c268, v87
	v_mul_f32_e32 v130, 0x3e750f2a, v86
	v_add_f32_e32 v106, v108, v106
	v_mul_f32_e32 v108, 0x3e750f2a, v82
	v_mul_f32_e32 v131, 0x3e750f2a, v87
	v_add_f32_e32 v100, v100, v136
	v_add_f32_e32 v103, v103, v109
	v_fma_f32 v128, 0x3f62ad3f, v58, -v128
	v_fmamk_f32 v110, v58, 0x3f116cb1, v114
	v_add_f32_e32 v81, v121, v81
	v_fma_f32 v121, 0xbf788fa5, v90, -v51
	v_add_f32_e32 v53, v94, v53
	v_fmamk_f32 v94, v89, 0x3f62ad3f, v120
	v_fma_f32 v120, 0x3f62ad3f, v89, -v120
	v_add_f32_e32 v104, v118, v104
	v_fmamk_f32 v118, v79, 0x3df6dbef, v105
	v_add_f32_e32 v83, v134, v83
	v_fma_f32 v134, 0xbf3f9e67, v89, -v138
	v_add_f32_e32 v43, v113, v43
	v_add_f32_e32 v41, v119, v41
	;; [unrolled: 1-line block ×5, first 2 shown]
	v_mul_f32_e32 v62, 0xbe750f2a, v91
	v_mul_f32_e32 v136, 0x3f52af12, v92
	;; [unrolled: 1-line block ×3, first 2 shown]
	v_add_f32_e32 v106, v128, v106
	v_fmamk_f32 v128, v85, 0xbf3f9e67, v93
	v_add_f32_e32 v100, v110, v100
	v_fma_f32 v93, 0xbf3f9e67, v85, -v93
	v_add_f32_e32 v73, v73, v103
	v_fmamk_f32 v127, v79, 0xbf788fa5, v108
	v_add_f32_e32 v75, v118, v75
	v_fma_f32 v118, 0xbf788fa5, v84, -v130
	v_fmamk_f32 v129, v85, 0xbf788fa5, v131
	v_add_f32_e32 v46, v121, v43
	v_add_f32_e32 v43, v120, v41
	;; [unrolled: 1-line block ×5, first 2 shown]
	v_fmamk_f32 v110, v89, 0xbf788fa5, v62
	v_fma_f32 v62, 0xbf788fa5, v89, -v62
	v_add_f32_e32 v100, v127, v100
	v_fmamk_f32 v127, v89, 0xbf3f9e67, v138
	v_fma_f32 v49, 0x3f116cb1, v90, -v136
	v_fmamk_f32 v72, v89, 0x3f116cb1, v74
	v_fma_f32 v138, 0x3df6dbef, v56, -v47
	v_add_f32_e32 v53, v93, v53
	v_add_f32_e32 v73, v122, v73
	;; [unrolled: 1-line block ×4, first 2 shown]
	v_fmamk_f32 v69, v56, 0x3f62ad3f, v116
	v_add_f32_e32 v45, v45, v39
	v_add_f32_e32 v67, v50, v71
	v_mul_f32_e32 v59, 0xbf29c268, v59
	v_mul_f32_e32 v70, 0xbf29c268, v77
	v_add_f32_e32 v62, v62, v53
	v_add_f32_e32 v53, v94, v73
	v_add_f32_e32 v48, v49, v76
	v_add_f32_e32 v49, v72, v75
	v_add_f32_e32 v44, v45, v44
	v_add_f32_e32 v45, v67, v68
	v_fma_f32 v56, 0x3f62ad3f, v56, -v116
	v_add_f32_e32 v67, v138, v107
	v_add_f32_e32 v68, v139, v132
	;; [unrolled: 1-line block ×4, first 2 shown]
	v_fma_f32 v71, 0x3f116cb1, v58, -v114
	v_fma_f32 v72, 0xbf3f9e67, v57, -v59
	v_fmamk_f32 v73, v58, 0xbf3f9e67, v70
	v_fmac_f32_e32 v59, 0xbf3f9e67, v57
	v_fmac_f32_e32 v111, 0x3df6dbef, v57
	;; [unrolled: 1-line block ×3, first 2 shown]
	v_add_f32_e32 v37, v56, v37
	v_fma_f32 v57, 0xbf3f9e67, v58, -v70
	v_add_f32_e32 v58, v71, v67
	v_add_f32_e32 v67, v72, v68
	;; [unrolled: 1-line block ×4, first 2 shown]
	v_mul_f32_e32 v59, 0x3f52af12, v80
	v_mul_f32_e32 v69, 0x3f52af12, v82
	v_add_f32_e32 v37, v57, v37
	v_fma_f32 v57, 0xbf788fa5, v79, -v108
	v_mul_f32_e32 v135, 0x3e750f2a, v80
	v_fma_f32 v70, 0x3f116cb1, v78, -v59
	v_fmamk_f32 v71, v79, 0x3f116cb1, v69
	v_mul_f32_e32 v102, 0x3eedf032, v87
	v_fmac_f32_e32 v123, 0x3f62ad3f, v78
	v_fmac_f32_e32 v59, 0x3f116cb1, v78
	v_fma_f32 v69, 0x3f116cb1, v79, -v69
	v_add_f32_e32 v57, v57, v58
	v_add_f32_e32 v58, v70, v67
	;; [unrolled: 1-line block ×3, first 2 shown]
	v_mul_f32_e32 v68, 0xbf6f5d39, v87
	v_mul_f32_e32 v96, 0x3f7e222b, v86
	;; [unrolled: 1-line block ×4, first 2 shown]
	v_add_f32_e32 v97, v111, v97
	v_fmac_f32_e32 v61, 0xbeb58ec6, v78
	v_fmac_f32_e32 v117, 0xbf3f9e67, v78
	v_fma_f32 v105, 0x3df6dbef, v79, -v105
	v_add_f32_e32 v99, v123, v99
	v_fma_f32 v123, 0xbf788fa5, v78, -v135
	v_add_f32_e32 v56, v133, v88
	v_fmac_f32_e32 v135, 0xbf788fa5, v78
	v_add_f32_e32 v36, v59, v36
	v_mul_f32_e32 v59, 0xbf6f5d39, v86
	v_add_f32_e32 v37, v69, v37
	v_fma_f32 v69, 0x3f62ad3f, v85, -v102
	v_fmamk_f32 v71, v85, 0xbeb58ec6, v68
	v_fma_f32 v68, 0xbeb58ec6, v85, -v68
	v_mul_f32_e32 v95, 0x3eedf032, v92
	v_mul_f32_e32 v125, 0xbf29c268, v92
	;; [unrolled: 1-line block ×4, first 2 shown]
	v_fmac_f32_e32 v55, 0xbf3f9e67, v84
	v_fma_f32 v115, 0x3df6dbef, v84, -v96
	v_fmac_f32_e32 v96, 0x3df6dbef, v84
	v_add_f32_e32 v61, v61, v97
	v_fma_f32 v103, 0x3f116cb1, v84, -v124
	v_add_f32_e32 v98, v117, v98
	v_fmac_f32_e32 v124, 0x3f116cb1, v84
	v_fmac_f32_e32 v130, 0xbf788fa5, v84
	v_fma_f32 v131, 0xbf788fa5, v85, -v131
	v_add_f32_e32 v105, v105, v106
	v_fma_f32 v106, 0x3f62ad3f, v84, -v140
	v_add_f32_e32 v81, v123, v81
	v_fmamk_f32 v123, v85, 0x3f62ad3f, v102
	v_add_f32_e32 v56, v135, v56
	v_fmac_f32_e32 v140, 0x3f62ad3f, v84
	v_fma_f32 v70, 0xbeb58ec6, v84, -v59
	v_fmac_f32_e32 v59, 0xbeb58ec6, v84
	v_add_f32_e32 v57, v69, v57
	v_mul_f32_e32 v69, 0x3f7e222b, v92
	v_add_f32_e32 v68, v68, v37
	v_mul_f32_e32 v37, 0x3f7e222b, v91
	v_fmac_f32_e32 v51, 0xbf788fa5, v90
	v_fma_f32 v97, 0x3f62ad3f, v90, -v95
	v_fmac_f32_e32 v95, 0x3f62ad3f, v90
	v_fma_f32 v117, 0xbf3f9e67, v90, -v125
	v_fmac_f32_e32 v125, 0xbf3f9e67, v90
	v_fmac_f32_e32 v136, 0x3f116cb1, v90
	v_fma_f32 v74, 0x3f116cb1, v89, -v74
	v_fma_f32 v113, 0xbeb58ec6, v90, -v111
	v_add_f32_e32 v42, v128, v42
	v_fmamk_f32 v128, v89, 0xbeb58ec6, v109
	v_add_f32_e32 v55, v55, v61
	v_add_f32_e32 v52, v115, v52
	;; [unrolled: 1-line block ×14, first 2 shown]
	v_fmac_f32_e32 v111, 0xbeb58ec6, v90
	v_fma_f32 v70, 0xbeb58ec6, v89, -v109
	v_fma_f32 v71, 0x3df6dbef, v90, -v69
	v_fmac_f32_e32 v69, 0x3df6dbef, v90
	v_fmamk_f32 v72, v89, 0x3df6dbef, v37
	v_fma_f32 v73, 0x3df6dbef, v89, -v37
	v_add_f32_e32 v47, v110, v42
	v_add_f32_e32 v61, v51, v55
	;; [unrolled: 1-line block ×17, first 2 shown]
	s_and_saveexec_b32 s1, s0
	s_cbranch_execz .LBB0_11
; %bb.10:
	v_add_nc_u32_e32 v67, 0x400, v63
	v_add_nc_u32_e32 v68, 0x800, v63
	;; [unrolled: 1-line block ×4, first 2 shown]
	ds_write2_b64 v63, v[44:45], v[46:47] offset1:63
	ds_write2_b64 v63, v[52:53], v[54:55] offset0:126 offset1:189
	ds_write2_b64 v67, v[48:49], v[50:51] offset0:124 offset1:187
	;; [unrolled: 1-line block ×5, first 2 shown]
	ds_write_b64 v63, v[61:62] offset:6048
.LBB0_11:
	s_or_b32 exec_lo, exec_lo, s1
	s_waitcnt lgkmcnt(0)
	s_barrier
	buffer_gl0_inv
	s_and_saveexec_b32 s2, vcc_lo
	s_cbranch_execz .LBB0_13
; %bb.12:
	v_add_co_u32 v73, s1, s14, v63
	v_add_co_ci_u32_e64 v74, null, s15, 0, s1
	v_add_nc_u32_e32 v100, 0x800, v63
	v_add_co_u32 v67, s1, 0x1800, v73
	v_add_co_ci_u32_e64 v68, s1, 0, v74, s1
	v_add_co_u32 v69, s1, 0x1998, v73
	v_add_co_ci_u32_e64 v70, s1, 0, v74, s1
	global_load_dwordx2 v[67:68], v[67:68], off offset:408
	v_add_co_u32 v71, s1, 0x2000, v73
	v_add_co_ci_u32_e64 v72, s1, 0, v74, s1
	s_clause 0x2
	global_load_dwordx2 v[83:84], v[69:70], off offset:728
	global_load_dwordx2 v[85:86], v[71:72], off offset:544
	;; [unrolled: 1-line block ×3, first 2 shown]
	v_add_co_u32 v69, s1, 0x2800, v73
	v_add_co_ci_u32_e64 v70, s1, 0, v74, s1
	s_clause 0x1
	global_load_dwordx2 v[89:90], v[71:72], off offset:1272
	global_load_dwordx2 v[91:92], v[71:72], off offset:2000
	v_add_co_u32 v71, s1, 0x3000, v73
	v_add_co_ci_u32_e64 v72, s1, 0, v74, s1
	s_clause 0x2
	global_load_dwordx2 v[93:94], v[69:70], off offset:680
	global_load_dwordx2 v[95:96], v[69:70], off offset:1408
	;; [unrolled: 1-line block ×3, first 2 shown]
	ds_read_b64 v[69:70], v63
	v_add_nc_u32_e32 v101, 0xc00, v63
	v_add_nc_u32_e32 v102, 0x1000, v63
	s_waitcnt vmcnt(8) lgkmcnt(0)
	v_mul_f32_e32 v71, v70, v68
	v_mul_f32_e32 v72, v69, v68
	v_fma_f32 v71, v69, v67, -v71
	v_fmac_f32_e32 v72, v70, v67
	ds_write_b64 v63, v[71:72]
	ds_read2_b64 v[67:70], v63 offset0:91 offset1:182
	ds_read2_b64 v[71:74], v100 offset0:17 offset1:108
	;; [unrolled: 1-line block ×4, first 2 shown]
	s_waitcnt vmcnt(7) lgkmcnt(3)
	v_mul_f32_e32 v103, v68, v84
	v_mul_f32_e32 v99, v67, v84
	s_waitcnt vmcnt(5)
	v_mul_f32_e32 v104, v70, v88
	v_mul_f32_e32 v84, v69, v88
	s_waitcnt lgkmcnt(2)
	v_mul_f32_e32 v105, v72, v86
	v_mul_f32_e32 v88, v71, v86
	s_waitcnt vmcnt(4)
	v_mul_f32_e32 v106, v74, v90
	v_mul_f32_e32 v86, v73, v90
	s_waitcnt vmcnt(3) lgkmcnt(1)
	v_mul_f32_e32 v107, v76, v92
	v_mul_f32_e32 v90, v75, v92
	s_waitcnt vmcnt(2)
	v_mul_f32_e32 v108, v78, v94
	v_mul_f32_e32 v92, v77, v94
	s_waitcnt vmcnt(1) lgkmcnt(0)
	v_mul_f32_e32 v109, v80, v96
	v_mul_f32_e32 v94, v79, v96
	s_waitcnt vmcnt(0)
	v_mul_f32_e32 v110, v82, v98
	v_mul_f32_e32 v96, v81, v98
	v_fma_f32 v98, v67, v83, -v103
	v_fmac_f32_e32 v99, v68, v83
	v_fma_f32 v83, v69, v87, -v104
	v_fmac_f32_e32 v84, v70, v87
	;; [unrolled: 2-line block ×8, first 2 shown]
	ds_write2_b64 v63, v[98:99], v[83:84] offset0:91 offset1:182
	ds_write2_b64 v100, v[87:88], v[85:86] offset0:17 offset1:108
	;; [unrolled: 1-line block ×4, first 2 shown]
.LBB0_13:
	s_or_b32 exec_lo, exec_lo, s2
	s_waitcnt lgkmcnt(0)
	s_barrier
	buffer_gl0_inv
	s_and_saveexec_b32 s1, vcc_lo
	s_cbranch_execz .LBB0_15
; %bb.14:
	v_add_nc_u32_e32 v36, 0x400, v63
	v_add_nc_u32_e32 v37, 0x800, v63
	;; [unrolled: 1-line block ×3, first 2 shown]
	ds_read2_b64 v[44:47], v63 offset1:91
	ds_read2_b64 v[52:55], v36 offset0:54 offset1:145
	ds_read2_b64 v[48:51], v37 offset0:108 offset1:199
	;; [unrolled: 1-line block ×3, first 2 shown]
	ds_read_b64 v[36:37], v63 offset:5824
.LBB0_15:
	s_or_b32 exec_lo, exec_lo, s1
	s_waitcnt lgkmcnt(0)
	v_sub_f32_e32 v70, v46, v36
	v_sub_f32_e32 v69, v47, v37
	v_add_f32_e32 v71, v36, v46
	v_sub_f32_e32 v68, v52, v58
	v_sub_f32_e32 v67, v53, v59
	v_add_f32_e32 v72, v37, v47
	v_add_f32_e32 v73, v58, v52
	;; [unrolled: 1-line block ×3, first 2 shown]
	v_sub_f32_e32 v59, v48, v50
	v_sub_f32_e32 v58, v49, v51
	v_add_f32_e32 v74, v50, v48
	v_add_f32_e32 v75, v51, v49
	v_mul_f32_e32 v46, 0x3f248dbb, v70
	v_mul_f32_e32 v36, 0x3f248dbb, v69
	v_fmamk_f32 v37, v71, 0x3f441b7d, v44
	v_fmamk_f32 v47, v72, 0x3f441b7d, v45
	v_mul_f32_e32 v52, 0x3f248dbb, v59
	v_mul_f32_e32 v53, 0x3f248dbb, v58
	v_fmamk_f32 v79, v74, 0x3f441b7d, v44
	v_fmamk_f32 v80, v75, 0x3f441b7d, v45
	v_sub_f32_e32 v78, v54, v56
	v_sub_f32_e32 v77, v55, v57
	v_fmac_f32_e32 v46, 0x3f7c1c5c, v68
	v_fmac_f32_e32 v36, 0x3f7c1c5c, v67
	v_add_f32_e32 v56, v56, v54
	v_add_f32_e32 v57, v57, v55
	v_fmac_f32_e32 v37, 0x3e31d0d4, v73
	v_fmac_f32_e32 v47, 0x3e31d0d4, v76
	v_fma_f32 v81, 0x3f7c1c5c, v70, -v52
	v_fma_f32 v82, 0x3f7c1c5c, v69, -v53
	v_fmac_f32_e32 v79, 0x3e31d0d4, v71
	v_fmac_f32_e32 v80, 0x3e31d0d4, v72
	;; [unrolled: 1-line block ×4, first 2 shown]
	v_fmac_f32_e32 v37, -0.5, v56
	v_fmac_f32_e32 v47, -0.5, v57
	v_fmac_f32_e32 v81, 0xbf5db3d7, v78
	v_fmac_f32_e32 v82, 0xbf5db3d7, v77
	v_fmac_f32_e32 v79, -0.5, v56
	v_fmac_f32_e32 v80, -0.5, v57
	v_fmac_f32_e32 v46, 0x3eaf1d44, v59
	v_fmac_f32_e32 v36, 0x3eaf1d44, v58
	;; [unrolled: 1-line block ×8, first 2 shown]
	v_sub_f32_e32 v54, v37, v36
	v_add_f32_e32 v55, v46, v47
	v_sub_f32_e32 v52, v79, v82
	v_add_f32_e32 v53, v81, v80
	v_fma_f32 v36, 2.0, v36, v54
	v_fma_f32 v37, -2.0, v46, v55
	s_barrier
	v_fma_f32 v46, 2.0, v82, v52
	v_fma_f32 v47, -2.0, v81, v53
	buffer_gl0_inv
	s_and_saveexec_b32 s1, vcc_lo
	s_cbranch_execz .LBB0_17
; %bb.16:
	v_mul_f32_e32 v79, 0x3f7c1c5c, v59
	v_fmamk_f32 v80, v76, 0x3f441b7d, v45
	v_mul_f32_e32 v78, 0x3f5db3d7, v78
	v_mul_f32_e32 v82, 0.5, v57
	v_add_f32_e32 v76, v76, v72
	v_fma_f32 v79, 0xbf248dbb, v68, -v79
	v_fmac_f32_e32 v80, 0x3e31d0d4, v75
	v_mul_f32_e32 v83, 0x3f7c1c5c, v58
	v_fmamk_f32 v84, v73, 0x3f441b7d, v44
	v_mul_f32_e32 v77, 0x3f5db3d7, v77
	v_add_f32_e32 v78, v78, v79
	v_sub_f32_e32 v79, v80, v82
	v_add_f32_e32 v82, v57, v76
	v_fma_f32 v80, 0xbf248dbb, v67, -v83
	v_add_f32_e32 v73, v73, v71
	v_fmac_f32_e32 v78, 0x3eaf1d44, v70
	v_fmac_f32_e32 v79, 0xbf708fb2, v72
	v_add_f32_e32 v49, v49, v82
	v_mul_f32_e32 v81, 0.5, v56
	v_fmac_f32_e32 v84, 0x3e31d0d4, v74
	v_add_f32_e32 v77, v77, v80
	v_add_f32_e32 v72, v78, v79
	;; [unrolled: 1-line block ×4, first 2 shown]
	v_sub_f32_e32 v80, v84, v81
	v_fmac_f32_e32 v77, 0x3eaf1d44, v69
	v_add_f32_e32 v59, v59, v70
	v_add_f32_e32 v51, v45, v51
	;; [unrolled: 1-line block ×8, first 2 shown]
	v_fmac_f32_e32 v80, 0xbf708fb2, v71
	v_sub_f32_e32 v59, v59, v68
	v_fmac_f32_e32 v57, -0.5, v45
	v_sub_f32_e32 v45, v58, v67
	v_fmac_f32_e32 v56, -0.5, v69
	v_add_f32_e32 v48, v50, v48
	v_mov_b32_e32 v67, 3
	v_sub_f32_e32 v71, v80, v77
	v_mul_f32_e32 v58, 0x3f5db3d7, v59
	v_fmac_f32_e32 v57, 0x3f5db3d7, v59
	v_mul_f32_e32 v59, 0x3f5db3d7, v45
	v_fmac_f32_e32 v56, 0xbf5db3d7, v45
	v_add_f32_e32 v50, v44, v48
	v_lshlrev_b32_sdwa v65, v67, v65 dst_sel:DWORD dst_unused:UNUSED_PAD src0_sel:DWORD src1_sel:WORD_0
	v_fma_f32 v49, -2.0, v78, v72
	v_fma_f32 v48, 2.0, v77, v71
	v_fma_f32 v45, -2.0, v58, v57
	v_fma_f32 v44, 2.0, v59, v56
	ds_write2_b64 v65, v[50:51], v[54:55] offset1:1
	ds_write2_b64 v65, v[52:53], v[56:57] offset0:2 offset1:3
	ds_write2_b64 v65, v[71:72], v[48:49] offset0:4 offset1:5
	;; [unrolled: 1-line block ×3, first 2 shown]
	ds_write_b64 v65, v[36:37] offset:64
.LBB0_17:
	s_or_b32 exec_lo, exec_lo, s1
	s_waitcnt lgkmcnt(0)
	s_barrier
	buffer_gl0_inv
	ds_read2_b64 v[50:53], v63 offset1:117
	v_add_nc_u32_e32 v48, 0x400, v63
	v_add_nc_u32_e32 v49, 0xc00, v63
	ds_read_b64 v[44:45], v63 offset:5616
	ds_read2_b64 v[54:57], v48 offset0:106 offset1:223
	ds_read2_b64 v[67:70], v49 offset0:84 offset1:201
	s_waitcnt lgkmcnt(0)
	s_barrier
	buffer_gl0_inv
	v_mul_f32_e32 v58, v17, v53
	v_mul_f32_e32 v17, v17, v52
	;; [unrolled: 1-line block ×4, first 2 shown]
	v_fmac_f32_e32 v58, v16, v52
	v_fma_f32 v16, v16, v53, -v17
	v_mul_f32_e32 v17, v19, v55
	v_mul_f32_e32 v19, v19, v54
	;; [unrolled: 1-line block ×8, first 2 shown]
	v_fmac_f32_e32 v59, v10, v44
	v_fma_f32 v10, v10, v45, -v11
	v_fmac_f32_e32 v17, v18, v54
	v_fma_f32 v11, v18, v55, -v19
	;; [unrolled: 2-line block ×5, first 2 shown]
	v_add_f32_e32 v9, v58, v59
	v_add_f32_e32 v14, v16, v10
	v_sub_f32_e32 v10, v16, v10
	v_add_f32_e32 v16, v17, v65
	v_add_f32_e32 v18, v11, v8
	v_sub_f32_e32 v15, v58, v59
	v_sub_f32_e32 v17, v17, v65
	;; [unrolled: 1-line block ×3, first 2 shown]
	v_add_f32_e32 v11, v52, v53
	v_add_f32_e32 v19, v12, v13
	v_sub_f32_e32 v44, v53, v52
	v_sub_f32_e32 v12, v13, v12
	v_add_f32_e32 v13, v16, v9
	v_add_f32_e32 v45, v18, v14
	v_sub_f32_e32 v52, v16, v9
	v_sub_f32_e32 v53, v18, v14
	;; [unrolled: 1-line block ×6, first 2 shown]
	v_add_f32_e32 v9, v44, v17
	v_add_f32_e32 v55, v12, v8
	v_sub_f32_e32 v56, v44, v17
	v_sub_f32_e32 v57, v12, v8
	;; [unrolled: 1-line block ×3, first 2 shown]
	v_add_f32_e32 v11, v11, v13
	v_add_f32_e32 v13, v19, v45
	v_sub_f32_e32 v19, v8, v10
	v_sub_f32_e32 v44, v15, v44
	;; [unrolled: 1-line block ×3, first 2 shown]
	v_add_f32_e32 v15, v9, v15
	v_add_f32_e32 v10, v55, v10
	;; [unrolled: 1-line block ×4, first 2 shown]
	v_mul_f32_e32 v45, 0x3f4a47b2, v54
	v_mul_f32_e32 v14, 0x3f4a47b2, v14
	;; [unrolled: 1-line block ×8, first 2 shown]
	v_fmamk_f32 v11, v11, 0xbf955555, v8
	v_fmamk_f32 v13, v13, 0xbf955555, v9
	;; [unrolled: 1-line block ×4, first 2 shown]
	v_fma_f32 v50, 0x3f3bfb3b, v52, -v50
	v_fma_f32 v51, 0x3f3bfb3b, v53, -v51
	;; [unrolled: 1-line block ×4, first 2 shown]
	v_fmamk_f32 v52, v44, 0xbeae86e6, v54
	v_fmamk_f32 v53, v12, 0xbeae86e6, v55
	v_fma_f32 v54, 0xbf5ff5aa, v17, -v54
	v_fma_f32 v55, 0xbf5ff5aa, v19, -v55
	;; [unrolled: 1-line block ×4, first 2 shown]
	v_add_f32_e32 v57, v16, v11
	v_add_f32_e32 v58, v18, v13
	v_add_f32_e32 v12, v50, v11
	v_add_f32_e32 v50, v51, v13
	v_add_f32_e32 v45, v45, v11
	v_add_f32_e32 v51, v14, v13
	v_fmac_f32_e32 v52, 0xbee1c552, v15
	v_fmac_f32_e32 v53, 0xbee1c552, v10
	;; [unrolled: 1-line block ×6, first 2 shown]
	v_add_f32_e32 v10, v53, v57
	v_sub_f32_e32 v11, v58, v52
	v_add_f32_e32 v16, v56, v45
	v_sub_f32_e32 v17, v51, v44
	v_sub_f32_e32 v18, v12, v55
	v_add_f32_e32 v19, v54, v50
	v_add_f32_e32 v12, v55, v12
	v_sub_f32_e32 v13, v50, v54
	v_sub_f32_e32 v14, v45, v56
	v_add_f32_e32 v15, v44, v51
	v_sub_f32_e32 v44, v57, v53
	v_add_f32_e32 v45, v52, v58
	ds_write2_b64 v66, v[8:9], v[10:11] offset1:9
	ds_write2_b64 v66, v[16:17], v[18:19] offset0:18 offset1:27
	ds_write2_b64 v66, v[12:13], v[14:15] offset0:36 offset1:45
	ds_write_b64 v66, v[44:45] offset:432
	s_waitcnt lgkmcnt(0)
	s_barrier
	buffer_gl0_inv
	s_and_saveexec_b32 s1, s0
	s_cbranch_execz .LBB0_19
; %bb.18:
	v_add_nc_u32_e32 v36, 0x800, v63
	v_add_nc_u32_e32 v40, 0x1000, v63
	ds_read2_b64 v[8:11], v63 offset1:63
	ds_read2_b64 v[16:19], v63 offset0:126 offset1:189
	ds_read2_b64 v[12:15], v48 offset0:124 offset1:187
	;; [unrolled: 1-line block ×5, first 2 shown]
	ds_read_b64 v[61:62], v63 offset:6048
.LBB0_19:
	s_or_b32 exec_lo, exec_lo, s1
	s_and_saveexec_b32 s1, s0
	s_cbranch_execz .LBB0_21
; %bb.20:
	s_waitcnt lgkmcnt(0)
	v_mul_f32_e32 v48, v35, v61
	v_mul_f32_e32 v49, v29, v10
	;; [unrolled: 1-line block ×5, first 2 shown]
	v_fma_f32 v48, v34, v62, -v48
	v_fma_f32 v49, v28, v11, -v49
	v_mul_f32_e32 v29, v35, v62
	v_fma_f32 v35, v32, v43, -v50
	v_fma_f32 v50, v30, v17, -v51
	v_mul_f32_e32 v53, v31, v17
	v_add_f32_e32 v51, v48, v49
	v_mul_f32_e32 v31, v33, v43
	v_fmac_f32_e32 v52, v28, v10
	v_fmac_f32_e32 v29, v34, v61
	v_add_f32_e32 v28, v35, v50
	v_fmac_f32_e32 v53, v30, v16
	v_fmac_f32_e32 v31, v32, v42
	v_mul_f32_e32 v30, 0xbf788fa5, v51
	v_sub_f32_e32 v11, v52, v29
	v_mul_f32_e32 v32, 0x3f62ad3f, v28
	v_mul_f32_e32 v33, v27, v40
	v_sub_f32_e32 v10, v53, v31
	v_mul_f32_e32 v34, v21, v18
	v_fmamk_f32 v16, v11, 0x3e750f2a, v30
	v_mul_f32_e32 v42, v21, v19
	v_fma_f32 v33, v26, v41, -v33
	v_fmamk_f32 v17, v10, 0xbeedf032, v32
	v_fma_f32 v34, v20, v19, -v34
	v_add_f32_e32 v16, v9, v16
	v_mul_f32_e32 v27, v27, v41
	v_mul_f32_e32 v19, v23, v12
	v_fmac_f32_e32 v42, v20, v18
	v_add_f32_e32 v41, v33, v34
	v_add_f32_e32 v16, v17, v16
	v_mul_f32_e32 v17, v25, v38
	v_fmac_f32_e32 v27, v26, v40
	v_fma_f32 v40, v22, v13, -v19
	v_mul_f32_e32 v43, v23, v13
	v_mul_f32_e32 v54, 0xbf3f9e67, v41
	v_fma_f32 v26, v24, v39, -v17
	v_mul_f32_e32 v39, v25, v39
	v_sub_f32_e32 v13, v42, v27
	v_fmac_f32_e32 v43, v22, v12
	v_mul_f32_e32 v17, v3, v36
	v_add_f32_e32 v25, v26, v40
	v_fmac_f32_e32 v39, v24, v38
	v_mul_f32_e32 v18, v5, v14
	v_fmamk_f32 v19, v13, 0x3f29c268, v54
	v_fma_f32 v24, v2, v37, -v17
	v_mul_f32_e32 v38, 0x3f116cb1, v25
	v_sub_f32_e32 v12, v43, v39
	v_mul_f32_e32 v37, v3, v37
	v_sub_f32_e32 v59, v49, v48
	v_fma_f32 v55, v4, v15, -v18
	v_add_f32_e32 v16, v19, v16
	v_fmamk_f32 v17, v12, 0xbf52af12, v38
	v_mul_f32_e32 v57, v5, v15
	v_fmac_f32_e32 v37, v2, v36
	v_mul_f32_e32 v2, v1, v46
	v_add_f32_e32 v15, v29, v52
	v_mul_f32_e32 v36, 0xbe750f2a, v59
	v_sub_f32_e32 v61, v50, v35
	v_add_f32_e32 v3, v17, v16
	v_fmac_f32_e32 v57, v4, v14
	v_mul_f32_e32 v4, v7, v44
	v_fma_f32 v62, v0, v47, -v2
	v_fmamk_f32 v2, v15, 0xbf788fa5, v36
	v_add_f32_e32 v16, v31, v53
	v_mul_f32_e32 v66, 0x3eedf032, v61
	v_sub_f32_e32 v67, v34, v33
	v_add_f32_e32 v56, v24, v55
	v_fma_f32 v65, v6, v45, -v4
	v_add_f32_e32 v2, v8, v2
	v_fmamk_f32 v5, v16, 0x3f62ad3f, v66
	v_add_f32_e32 v17, v27, v42
	v_mul_f32_e32 v69, 0xbf29c268, v67
	v_mul_f32_e32 v45, v7, v45
	v_sub_f32_e32 v70, v40, v26
	v_mul_f32_e32 v47, v1, v47
	v_mul_f32_e32 v58, 0xbeb58ec6, v56
	v_sub_f32_e32 v14, v57, v37
	v_add_f32_e32 v68, v62, v65
	v_add_f32_e32 v1, v5, v2
	v_fmamk_f32 v2, v17, 0xbf3f9e67, v69
	v_add_f32_e32 v7, v39, v43
	v_mul_f32_e32 v71, 0x3f52af12, v70
	v_fmac_f32_e32 v45, v6, v44
	v_sub_f32_e32 v44, v55, v24
	v_fmac_f32_e32 v47, v0, v46
	v_fmamk_f32 v4, v14, 0x3f6f5d39, v58
	v_add_f32_e32 v0, v2, v1
	v_fmamk_f32 v1, v7, 0x3f116cb1, v71
	v_add_f32_e32 v6, v37, v57
	v_mul_f32_e32 v46, 0xbf6f5d39, v44
	v_mul_f32_e32 v72, 0x3df6dbef, v68
	v_sub_f32_e32 v73, v65, v62
	v_sub_f32_e32 v18, v45, v47
	v_add_f32_e32 v0, v1, v0
	v_fmamk_f32 v1, v6, 0xbeb58ec6, v46
	v_add_f32_e32 v19, v47, v45
	v_mul_f32_e32 v74, 0x3f7e222b, v73
	v_add_f32_e32 v2, v4, v3
	v_fmamk_f32 v3, v18, 0xbf7e222b, v72
	v_mul_f32_e32 v75, 0xbf3f9e67, v51
	v_add_f32_e32 v0, v1, v0
	v_fmamk_f32 v4, v19, 0x3df6dbef, v74
	v_mul_f32_e32 v76, 0xbf29c268, v59
	v_add_f32_e32 v1, v3, v2
	v_fmamk_f32 v2, v11, 0x3f29c268, v75
	v_mul_f32_e32 v77, 0x3df6dbef, v28
	v_add_f32_e32 v0, v4, v0
	v_fmamk_f32 v3, v15, 0xbf3f9e67, v76
	v_mul_f32_e32 v78, 0x3f7e222b, v61
	v_add_f32_e32 v2, v9, v2
	v_fmamk_f32 v4, v10, 0xbf7e222b, v77
	v_mul_f32_e32 v79, 0x3f116cb1, v41
	v_add_f32_e32 v3, v8, v3
	v_fmamk_f32 v5, v16, 0x3df6dbef, v78
	v_mul_f32_e32 v80, 0xbf52af12, v67
	v_add_f32_e32 v2, v4, v2
	v_fmamk_f32 v4, v13, 0x3f52af12, v79
	v_mul_f32_e32 v81, 0xbf788fa5, v25
	v_add_f32_e32 v3, v5, v3
	v_fmamk_f32 v5, v17, 0x3f116cb1, v80
	v_mul_f32_e32 v82, 0x3e750f2a, v70
	v_add_f32_e32 v2, v4, v2
	v_fmamk_f32 v4, v12, 0xbe750f2a, v81
	v_mul_f32_e32 v83, 0x3f62ad3f, v56
	v_add_f32_e32 v3, v5, v3
	v_fmamk_f32 v5, v7, 0xbf788fa5, v82
	v_mul_f32_e32 v84, 0x3eedf032, v44
	v_add_f32_e32 v2, v4, v2
	v_fmamk_f32 v4, v14, 0xbeedf032, v83
	v_mul_f32_e32 v85, 0xbeb58ec6, v68
	v_add_f32_e32 v3, v5, v3
	v_fmamk_f32 v5, v6, 0x3f62ad3f, v84
	v_mul_f32_e32 v86, 0xbf6f5d39, v73
	v_add_f32_e32 v2, v4, v2
	v_fmamk_f32 v4, v18, 0x3f6f5d39, v85
	v_mul_f32_e32 v87, 0xbeb58ec6, v51
	v_add_f32_e32 v5, v5, v3
	v_fmamk_f32 v20, v19, 0xbeb58ec6, v86
	v_mul_f32_e32 v88, 0xbf6f5d39, v59
	v_add_f32_e32 v3, v4, v2
	v_fmamk_f32 v4, v11, 0x3f6f5d39, v87
	v_mul_f32_e32 v89, 0xbf3f9e67, v28
	v_add_f32_e32 v2, v20, v5
	v_fmamk_f32 v5, v15, 0xbeb58ec6, v88
	v_mul_f32_e32 v90, 0x3f29c268, v61
	v_add_f32_e32 v4, v9, v4
	v_fmamk_f32 v20, v10, 0xbf29c268, v89
	v_mul_f32_e32 v91, 0x3f62ad3f, v41
	v_add_f32_e32 v5, v8, v5
	v_fmamk_f32 v21, v16, 0xbf3f9e67, v90
	v_mul_f32_e32 v92, 0x3eedf032, v67
	v_add_f32_e32 v4, v20, v4
	v_fmamk_f32 v20, v13, 0xbeedf032, v91
	v_mul_f32_e32 v93, 0x3df6dbef, v25
	v_add_f32_e32 v5, v21, v5
	v_fmamk_f32 v21, v17, 0x3f62ad3f, v92
	v_mul_f32_e32 v94, 0xbf7e222b, v70
	v_add_f32_e32 v4, v20, v4
	v_fmamk_f32 v20, v12, 0x3f7e222b, v93
	v_mul_f32_e32 v95, 0xbf788fa5, v56
	v_add_f32_e32 v5, v21, v5
	v_fmamk_f32 v21, v7, 0x3df6dbef, v94
	v_mul_f32_e32 v96, 0x3e750f2a, v44
	v_add_f32_e32 v4, v20, v4
	v_fmamk_f32 v20, v14, 0xbe750f2a, v95
	v_mul_f32_e32 v97, 0x3f116cb1, v68
	v_add_f32_e32 v5, v21, v5
	v_fmamk_f32 v21, v6, 0xbf788fa5, v96
	v_mul_f32_e32 v98, 0x3f52af12, v73
	v_add_f32_e32 v4, v20, v4
	v_fmamk_f32 v20, v18, 0xbf52af12, v97
	v_mul_f32_e32 v99, 0x3df6dbef, v51
	v_add_f32_e32 v21, v21, v5
	v_fmamk_f32 v22, v19, 0x3f116cb1, v98
	v_mul_f32_e32 v100, 0xbf7e222b, v59
	v_add_f32_e32 v5, v20, v4
	v_fmamk_f32 v20, v11, 0x3f7e222b, v99
	v_mul_f32_e32 v101, 0xbf788fa5, v28
	v_add_f32_e32 v4, v22, v21
	v_fmamk_f32 v21, v15, 0x3df6dbef, v100
	v_mul_f32_e32 v102, 0xbe750f2a, v61
	v_add_f32_e32 v20, v9, v20
	v_fmamk_f32 v22, v10, 0x3e750f2a, v101
	v_mul_f32_e32 v103, 0xbeb58ec6, v41
	v_add_f32_e32 v21, v8, v21
	v_fmamk_f32 v23, v16, 0xbf788fa5, v102
	v_mul_f32_e32 v104, 0x3f6f5d39, v67
	v_add_f32_e32 v20, v22, v20
	v_fmamk_f32 v22, v13, 0xbf6f5d39, v103
	v_mul_f32_e32 v105, 0x3f62ad3f, v25
	v_add_f32_e32 v21, v23, v21
	v_fmamk_f32 v23, v17, 0xbeb58ec6, v104
	v_mul_f32_e32 v106, 0x3eedf032, v70
	v_add_f32_e32 v20, v22, v20
	v_fmamk_f32 v22, v12, 0xbeedf032, v105
	v_mul_f32_e32 v107, 0x3f116cb1, v56
	v_add_f32_e32 v21, v23, v21
	v_fmamk_f32 v23, v7, 0x3f62ad3f, v106
	v_mul_f32_e32 v108, 0xbf52af12, v44
	v_add_f32_e32 v20, v22, v20
	v_fmamk_f32 v22, v14, 0x3f52af12, v107
	v_mul_f32_e32 v109, 0xbf3f9e67, v68
	v_add_f32_e32 v21, v23, v21
	v_fmamk_f32 v23, v6, 0x3f116cb1, v108
	v_mul_f32_e32 v110, 0xbf29c268, v73
	v_add_f32_e32 v20, v22, v20
	v_fmamk_f32 v22, v18, 0x3f29c268, v109
	v_mul_f32_e32 v111, 0x3f116cb1, v51
	v_add_f32_e32 v23, v23, v21
	v_fmamk_f32 v112, v19, 0xbf3f9e67, v110
	v_mul_f32_e32 v113, 0xbf52af12, v59
	v_add_f32_e32 v21, v22, v20
	v_fmamk_f32 v22, v11, 0x3f52af12, v111
	v_mul_f32_e32 v114, 0xbeb58ec6, v28
	v_add_f32_e32 v20, v112, v23
	v_fmamk_f32 v23, v15, 0x3f116cb1, v113
	v_mul_f32_e32 v112, 0xbf6f5d39, v61
	v_add_f32_e32 v22, v9, v22
	v_fmamk_f32 v115, v10, 0x3f6f5d39, v114
	v_mul_f32_e32 v116, 0xbf788fa5, v41
	v_add_f32_e32 v23, v8, v23
	v_fmamk_f32 v117, v16, 0xbeb58ec6, v112
	v_mul_f32_e32 v118, 0xbe750f2a, v67
	v_add_f32_e32 v22, v115, v22
	v_fmamk_f32 v115, v13, 0x3e750f2a, v116
	v_mul_f32_e32 v119, 0xbf3f9e67, v25
	v_add_f32_e32 v23, v117, v23
	v_fmamk_f32 v117, v17, 0xbf788fa5, v118
	v_mul_f32_e32 v120, 0x3f29c268, v70
	v_add_f32_e32 v22, v115, v22
	v_fmamk_f32 v115, v12, 0xbf29c268, v119
	v_mul_f32_e32 v121, 0x3df6dbef, v56
	v_add_f32_e32 v23, v117, v23
	v_fmamk_f32 v117, v7, 0xbf3f9e67, v120
	v_mul_f32_e32 v122, 0x3f7e222b, v44
	v_add_f32_e32 v22, v115, v22
	v_fmamk_f32 v115, v14, 0xbf7e222b, v121
	v_mul_f32_e32 v51, 0x3f62ad3f, v51
	v_mul_f32_e32 v123, 0x3f62ad3f, v68
	v_add_f32_e32 v23, v117, v23
	v_mul_f32_e32 v124, 0x3f116cb1, v28
	v_fmamk_f32 v28, v6, 0x3df6dbef, v122
	v_add_f32_e32 v22, v115, v22
	v_mul_f32_e32 v115, 0x3eedf032, v73
	v_fmamk_f32 v117, v11, 0x3eedf032, v51
	v_fmamk_f32 v126, v18, 0xbeedf032, v123
	v_add_f32_e32 v28, v28, v23
	v_add_f32_e32 v49, v49, v9
	v_fmamk_f32 v127, v19, 0x3f62ad3f, v115
	v_add_f32_e32 v117, v9, v117
	v_fmamk_f32 v125, v10, 0x3f52af12, v124
	v_mul_f32_e32 v41, 0x3df6dbef, v41
	v_add_f32_e32 v23, v126, v22
	v_add_f32_e32 v22, v127, v28
	v_add_f32_e32 v28, v50, v49
	v_add_f32_e32 v49, v8, v52
	v_add_f32_e32 v117, v125, v117
	v_fmamk_f32 v125, v13, 0x3f7e222b, v41
	v_mul_f32_e32 v126, 0xbeb58ec6, v25
	v_add_f32_e32 v28, v34, v28
	v_add_f32_e32 v34, v53, v49
	v_mul_f32_e32 v52, 0xbf3f9e67, v56
	v_add_f32_e32 v25, v125, v117
	v_fmamk_f32 v50, v12, 0x3f6f5d39, v126
	v_mul_f32_e32 v56, 0xbeedf032, v59
	v_add_f32_e32 v28, v40, v28
	v_add_f32_e32 v34, v42, v34
	v_fmamk_f32 v49, v14, 0x3f29c268, v52
	v_add_f32_e32 v25, v50, v25
	v_fmamk_f32 v50, v15, 0x3f62ad3f, v56
	v_mul_f32_e32 v40, 0xbf52af12, v61
	v_add_f32_e32 v28, v55, v28
	v_add_f32_e32 v34, v43, v34
	;; [unrolled: 1-line block ×4, first 2 shown]
	v_fmamk_f32 v43, v16, 0x3f116cb1, v40
	v_mul_f32_e32 v49, 0xbf7e222b, v67
	v_add_f32_e32 v28, v65, v28
	v_add_f32_e32 v34, v57, v34
	v_mul_f32_e32 v53, 0xbf6f5d39, v70
	v_add_f32_e32 v42, v43, v42
	v_fmamk_f32 v43, v17, 0x3df6dbef, v49
	v_add_f32_e32 v28, v62, v28
	v_add_f32_e32 v34, v45, v34
	v_fmac_f32_e32 v30, 0xbe750f2a, v11
	v_fmac_f32_e32 v32, 0x3eedf032, v10
	v_add_f32_e32 v42, v43, v42
	v_fmamk_f32 v43, v7, 0xbeb58ec6, v53
	v_add_f32_e32 v24, v24, v28
	v_add_f32_e32 v28, v47, v34
	v_mul_f32_e32 v34, 0xbf29c268, v44
	v_add_f32_e32 v30, v9, v30
	v_add_f32_e32 v42, v43, v42
	v_add_f32_e32 v24, v26, v24
	v_add_f32_e32 v26, v37, v28
	v_fmamk_f32 v28, v6, 0xbf3f9e67, v34
	v_mul_f32_e32 v37, 0xbe750f2a, v73
	v_add_f32_e32 v30, v32, v30
	v_add_f32_e32 v24, v33, v24
	;; [unrolled: 1-line block ×4, first 2 shown]
	v_fmamk_f32 v33, v19, 0xbf788fa5, v37
	v_fmac_f32_e32 v54, 0xbf29c268, v13
	v_add_f32_e32 v35, v35, v24
	v_add_f32_e32 v26, v27, v26
	v_fmac_f32_e32 v38, 0x3f52af12, v12
	v_add_f32_e32 v24, v33, v28
	v_fma_f32 v28, 0xbf788fa5, v15, -v36
	v_add_f32_e32 v30, v54, v30
	v_add_f32_e32 v26, v31, v26
	v_fma_f32 v31, 0x3f62ad3f, v16, -v66
	v_fma_f32 v32, 0xbf3f9e67, v15, -v76
	v_add_f32_e32 v28, v8, v28
	v_fma_f32 v33, 0x3df6dbef, v16, -v78
	v_add_f32_e32 v26, v29, v26
	v_add_f32_e32 v29, v38, v30
	v_fma_f32 v30, 0xbf3f9e67, v17, -v69
	v_add_f32_e32 v28, v31, v28
	v_add_f32_e32 v32, v8, v32
	v_fmac_f32_e32 v87, 0xbf6f5d39, v11
	v_add_f32_e32 v27, v48, v35
	v_fmac_f32_e32 v89, 0x3f29c268, v10
	v_add_f32_e32 v28, v30, v28
	v_fma_f32 v30, 0x3f116cb1, v7, -v71
	v_add_f32_e32 v32, v33, v32
	v_fma_f32 v33, 0x3f116cb1, v17, -v80
	v_add_f32_e32 v35, v9, v87
	v_fmac_f32_e32 v99, 0xbf7e222b, v11
	v_add_f32_e32 v28, v30, v28
	v_fma_f32 v30, 0xbeb58ec6, v6, -v46
	v_fma_f32 v36, 0xbeb58ec6, v19, -v86
	v_fmac_f32_e32 v101, 0xbe750f2a, v10
	v_add_f32_e32 v38, v9, v99
	v_fma_f32 v42, 0x3f116cb1, v19, -v98
	v_add_f32_e32 v28, v30, v28
	v_fma_f32 v30, 0x3df6dbef, v19, -v74
	v_fmac_f32_e32 v75, 0xbf29c268, v11
	v_fmac_f32_e32 v111, 0xbf52af12, v11
	;; [unrolled: 1-line block ×3, first 2 shown]
	v_fma_f32 v11, 0x3f62ad3f, v15, -v56
	v_add_f32_e32 v28, v30, v28
	v_add_f32_e32 v30, v33, v32
	v_fma_f32 v32, 0xbf788fa5, v7, -v82
	v_add_f32_e32 v33, v89, v35
	v_fma_f32 v35, 0xbeb58ec6, v15, -v88
	v_fmac_f32_e32 v77, 0x3f7e222b, v10
	v_fma_f32 v39, 0xbf788fa5, v16, -v102
	v_add_f32_e32 v30, v32, v30
	v_fma_f32 v32, 0x3f62ad3f, v6, -v84
	v_fmac_f32_e32 v114, 0xbf6f5d39, v10
	v_fmac_f32_e32 v124, 0xbf52af12, v10
	v_fma_f32 v10, 0x3f116cb1, v16, -v40
	v_add_f32_e32 v31, v9, v75
	v_add_f32_e32 v30, v32, v30
	;; [unrolled: 1-line block ×3, first 2 shown]
	v_fma_f32 v35, 0xbf3f9e67, v16, -v90
	v_fmac_f32_e32 v103, 0x3f6f5d39, v13
	v_add_f32_e32 v31, v77, v31
	v_add_f32_e32 v30, v36, v30
	;; [unrolled: 1-line block ×4, first 2 shown]
	v_fma_f32 v35, 0x3f62ad3f, v17, -v92
	v_fma_f32 v38, 0xbf788fa5, v6, -v96
	v_fmac_f32_e32 v79, 0xbf52af12, v13
	v_fmac_f32_e32 v91, 0x3eedf032, v13
	v_add_f32_e32 v36, v103, v36
	v_add_f32_e32 v32, v35, v32
	v_fma_f32 v35, 0x3df6dbef, v7, -v94
	v_fmac_f32_e32 v105, 0x3eedf032, v12
	v_fmac_f32_e32 v116, 0xbe750f2a, v13
	;; [unrolled: 1-line block ×3, first 2 shown]
	v_fma_f32 v13, 0xbf3f9e67, v7, -v120
	v_add_f32_e32 v32, v35, v32
	v_fma_f32 v35, 0x3df6dbef, v15, -v100
	v_add_f32_e32 v31, v79, v31
	v_fmac_f32_e32 v81, 0x3e750f2a, v12
	v_add_f32_e32 v33, v91, v33
	v_add_f32_e32 v32, v38, v32
	;; [unrolled: 1-line block ×5, first 2 shown]
	v_fmac_f32_e32 v93, 0xbf7e222b, v12
	v_add_f32_e32 v32, v42, v32
	v_fma_f32 v42, 0x3f116cb1, v15, -v113
	v_add_f32_e32 v35, v39, v35
	v_fma_f32 v39, 0xbeb58ec6, v17, -v104
	v_add_f32_e32 v38, v114, v38
	v_add_f32_e32 v9, v124, v9
	;; [unrolled: 1-line block ×3, first 2 shown]
	v_fma_f32 v42, 0xbeb58ec6, v16, -v112
	v_add_f32_e32 v8, v8, v11
	v_add_f32_e32 v35, v39, v35
	v_fma_f32 v39, 0x3f62ad3f, v7, -v106
	v_fma_f32 v7, 0xbeb58ec6, v7, -v53
	v_add_f32_e32 v11, v42, v15
	v_fma_f32 v15, 0xbf788fa5, v17, -v118
	v_add_f32_e32 v8, v10, v8
	;; [unrolled: 2-line block ×3, first 2 shown]
	v_fmac_f32_e32 v107, 0xbf52af12, v14
	v_add_f32_e32 v11, v15, v11
	v_add_f32_e32 v38, v116, v38
	;; [unrolled: 1-line block ×3, first 2 shown]
	v_fmac_f32_e32 v119, 0x3f29c268, v12
	v_mul_f32_e32 v50, 0xbf788fa5, v68
	v_add_f32_e32 v9, v41, v9
	v_fmac_f32_e32 v126, 0xbf6f5d39, v12
	v_add_f32_e32 v10, v13, v11
	v_fma_f32 v11, 0x3df6dbef, v6, -v122
	v_fmac_f32_e32 v58, 0xbf6f5d39, v14
	v_fma_f32 v43, 0x3f116cb1, v6, -v108
	v_add_f32_e32 v7, v7, v8
	v_fma_f32 v6, 0xbf3f9e67, v6, -v34
	v_add_f32_e32 v31, v81, v31
	v_fmac_f32_e32 v83, 0x3eedf032, v14
	v_add_f32_e32 v33, v93, v33
	v_fmac_f32_e32 v95, 0x3e750f2a, v14
	;; [unrolled: 2-line block ×3, first 2 shown]
	v_add_f32_e32 v39, v39, v35
	v_add_f32_e32 v38, v119, v38
	v_fmac_f32_e32 v121, 0x3f7e222b, v14
	v_fmamk_f32 v45, v18, 0x3e750f2a, v50
	v_add_f32_e32 v9, v126, v9
	v_fmac_f32_e32 v52, 0xbf29c268, v14
	v_add_f32_e32 v8, v11, v10
	v_fma_f32 v10, 0x3f62ad3f, v19, -v115
	v_add_f32_e32 v29, v58, v29
	v_fmac_f32_e32 v72, 0x3f7e222b, v18
	v_add_f32_e32 v11, v6, v7
	v_fma_f32 v12, 0xbf788fa5, v19, -v37
	v_add_f32_e32 v31, v83, v31
	v_fmac_f32_e32 v85, 0xbf6f5d39, v18
	v_add_f32_e32 v33, v95, v33
	v_fmac_f32_e32 v97, 0x3f52af12, v18
	v_add_f32_e32 v35, v109, v36
	v_add_f32_e32 v36, v43, v39
	v_fma_f32 v39, 0xbf3f9e67, v19, -v110
	v_add_f32_e32 v38, v121, v38
	v_fmac_f32_e32 v123, 0x3eedf032, v18
	v_add_f32_e32 v25, v45, v25
	v_add_f32_e32 v9, v52, v9
	v_fmac_f32_e32 v50, 0xbe750f2a, v18
	v_add_f32_e32 v6, v10, v8
	v_add_nc_u32_e32 v10, 0x400, v63
	v_add_f32_e32 v29, v72, v29
	v_add_f32_e32 v8, v12, v11
	v_add_nc_u32_e32 v11, 0x800, v63
	v_add_f32_e32 v31, v85, v31
	;; [unrolled: 3-line block ×4, first 2 shown]
	ds_write2_b64 v63, v[26:27], v[24:25] offset1:63
	ds_write2_b64 v63, v[22:23], v[20:21] offset0:126 offset1:189
	ds_write2_b64 v10, v[4:5], v[2:3] offset0:124 offset1:187
	;; [unrolled: 1-line block ×5, first 2 shown]
	ds_write_b64 v63, v[8:9] offset:6048
.LBB0_21:
	s_or_b32 exec_lo, exec_lo, s1
	s_waitcnt lgkmcnt(0)
	s_barrier
	buffer_gl0_inv
	s_and_b32 exec_lo, exec_lo, vcc_lo
	s_cbranch_execz .LBB0_23
; %bb.22:
	v_add_co_u32 v2, s0, s14, v63
	v_add_co_ci_u32_e64 v3, null, s15, 0, s0
	s_clause 0x2
	global_load_dwordx2 v[16:17], v63, s[14:15]
	global_load_dwordx2 v[18:19], v63, s[14:15] offset:728
	global_load_dwordx2 v[20:21], v63, s[14:15] offset:1456
	v_add_co_u32 v0, vcc_lo, 0x800, v2
	v_add_co_ci_u32_e32 v1, vcc_lo, 0, v3, vcc_lo
	v_add_co_u32 v2, vcc_lo, 0x1000, v2
	v_add_co_ci_u32_e32 v3, vcc_lo, 0, v3, vcc_lo
	s_clause 0x5
	global_load_dwordx2 v[22:23], v[0:1], off offset:136
	global_load_dwordx2 v[24:25], v[0:1], off offset:864
	;; [unrolled: 1-line block ×6, first 2 shown]
	v_mad_u64_u32 v[4:5], null, s6, v60, 0
	v_mad_u64_u32 v[6:7], null, s4, v64, 0
	ds_read_b64 v[34:35], v63
	v_add_nc_u32_e32 v12, 0x1000, v63
	s_mov_b32 s0, 0x14014014
	s_mov_b32 s1, 0x3f540140
	v_mov_b32_e32 v0, v5
	s_mul_i32 s2, s5, 0x2d8
	v_mov_b32_e32 v1, v7
	ds_read2_b64 v[12:15], v12 offset0:125 offset1:216
	s_mul_hi_u32 s3, s4, 0x2d8
	s_mulk_i32 s4, 0x2d8
	s_add_i32 s3, s3, s2
	v_mad_u64_u32 v[7:8], null, s7, v60, v[0:1]
	v_mad_u64_u32 v[8:9], null, s5, v64, v[1:2]
	ds_read2_b64 v[0:3], v63 offset0:91 offset1:182
	v_add_nc_u32_e32 v9, 0xc00, v63
	v_mov_b32_e32 v5, v7
	v_mov_b32_e32 v7, v8
	v_add_nc_u32_e32 v8, 0x800, v63
	v_lshlrev_b64 v[4:5], 3, v[4:5]
	v_lshlrev_b64 v[6:7], 3, v[6:7]
	v_add_co_u32 v4, vcc_lo, s12, v4
	v_add_co_ci_u32_e32 v5, vcc_lo, s13, v5, vcc_lo
	v_add_co_u32 v36, vcc_lo, v4, v6
	v_add_co_ci_u32_e32 v37, vcc_lo, v5, v7, vcc_lo
	ds_read2_b64 v[4:7], v8 offset0:17 offset1:108
	ds_read2_b64 v[8:11], v9 offset0:71 offset1:162
	v_add_co_u32 v38, vcc_lo, v36, s4
	v_add_co_ci_u32_e32 v39, vcc_lo, s3, v37, vcc_lo
	v_add_co_u32 v40, vcc_lo, v38, s4
	v_add_co_ci_u32_e32 v41, vcc_lo, s3, v39, vcc_lo
	;; [unrolled: 2-line block ×3, first 2 shown]
	s_waitcnt vmcnt(8) lgkmcnt(4)
	v_mul_f32_e32 v44, v35, v17
	v_mul_f32_e32 v17, v34, v17
	s_waitcnt vmcnt(7) lgkmcnt(2)
	v_mul_f32_e32 v45, v1, v19
	s_waitcnt vmcnt(6)
	v_mul_f32_e32 v46, v3, v21
	v_mul_f32_e32 v19, v0, v19
	v_fmac_f32_e32 v44, v34, v16
	v_mul_f32_e32 v21, v2, v21
	v_fma_f32 v16, v16, v35, -v17
	v_fmac_f32_e32 v45, v0, v18
	v_fmac_f32_e32 v46, v2, v20
	v_fma_f32 v18, v18, v1, -v19
	v_cvt_f64_f32_e32 v[0:1], v44
	s_waitcnt vmcnt(5) lgkmcnt(1)
	v_mul_f32_e32 v44, v5, v23
	v_mul_f32_e32 v23, v4, v23
	v_fma_f32 v34, v20, v3, -v21
	v_cvt_f64_f32_e32 v[2:3], v16
	v_cvt_f64_f32_e32 v[16:17], v45
	s_waitcnt vmcnt(4)
	v_mul_f32_e32 v45, v7, v25
	v_mul_f32_e32 v25, v6, v25
	v_cvt_f64_f32_e32 v[20:21], v46
	s_waitcnt vmcnt(3) lgkmcnt(0)
	v_mul_f32_e32 v46, v9, v27
	v_mul_f32_e32 v27, v8, v27
	s_waitcnt vmcnt(2)
	v_mul_f32_e32 v47, v11, v29
	v_mul_f32_e32 v29, v10, v29
	s_waitcnt vmcnt(1)
	;; [unrolled: 3-line block ×3, first 2 shown]
	v_mul_f32_e32 v49, v15, v33
	v_mul_f32_e32 v33, v14, v33
	v_fmac_f32_e32 v44, v4, v22
	v_fma_f32 v22, v22, v5, -v23
	v_fmac_f32_e32 v45, v6, v24
	v_fma_f32 v23, v24, v7, -v25
	;; [unrolled: 2-line block ×3, first 2 shown]
	v_cvt_f64_f32_e32 v[18:19], v18
	v_fmac_f32_e32 v47, v10, v28
	v_fma_f32 v25, v28, v11, -v29
	v_cvt_f64_f32_e32 v[34:35], v34
	v_fmac_f32_e32 v48, v12, v30
	v_fma_f32 v28, v30, v13, -v31
	v_fmac_f32_e32 v49, v14, v32
	v_fma_f32 v32, v32, v15, -v33
	v_cvt_f64_f32_e32 v[4:5], v44
	v_cvt_f64_f32_e32 v[6:7], v22
	;; [unrolled: 1-line block ×12, first 2 shown]
	v_mul_f64 v[0:1], v[0:1], s[0:1]
	v_mul_f64 v[2:3], v[2:3], s[0:1]
	;; [unrolled: 1-line block ×6, first 2 shown]
	v_add_co_u32 v44, vcc_lo, v42, s4
	v_add_co_ci_u32_e32 v45, vcc_lo, s3, v43, vcc_lo
	v_mul_f64 v[4:5], v[4:5], s[0:1]
	v_mul_f64 v[6:7], v[6:7], s[0:1]
	;; [unrolled: 1-line block ×12, first 2 shown]
	v_cvt_f32_f64_e32 v0, v[0:1]
	v_cvt_f32_f64_e32 v1, v[2:3]
	;; [unrolled: 1-line block ×6, first 2 shown]
	v_add_co_u32 v46, vcc_lo, v44, s4
	v_add_co_ci_u32_e32 v47, vcc_lo, s3, v45, vcc_lo
	v_cvt_f32_f64_e32 v4, v[4:5]
	v_cvt_f32_f64_e32 v5, v[6:7]
	;; [unrolled: 1-line block ×12, first 2 shown]
	v_add_co_u32 v18, vcc_lo, v46, s4
	v_add_co_ci_u32_e32 v19, vcc_lo, s3, v47, vcc_lo
	v_add_co_u32 v20, vcc_lo, v18, s4
	v_add_co_ci_u32_e32 v21, vcc_lo, s3, v19, vcc_lo
	;; [unrolled: 2-line block ×3, first 2 shown]
	global_store_dwordx2 v[36:37], v[0:1], off
	global_store_dwordx2 v[38:39], v[2:3], off
	;; [unrolled: 1-line block ×9, first 2 shown]
.LBB0_23:
	s_endpgm
	.section	.rodata,"a",@progbits
	.p2align	6, 0x0
	.amdhsa_kernel bluestein_single_fwd_len819_dim1_sp_op_CI_CI
		.amdhsa_group_segment_fixed_size 6552
		.amdhsa_private_segment_fixed_size 0
		.amdhsa_kernarg_size 104
		.amdhsa_user_sgpr_count 6
		.amdhsa_user_sgpr_private_segment_buffer 1
		.amdhsa_user_sgpr_dispatch_ptr 0
		.amdhsa_user_sgpr_queue_ptr 0
		.amdhsa_user_sgpr_kernarg_segment_ptr 1
		.amdhsa_user_sgpr_dispatch_id 0
		.amdhsa_user_sgpr_flat_scratch_init 0
		.amdhsa_user_sgpr_private_segment_size 0
		.amdhsa_wavefront_size32 1
		.amdhsa_uses_dynamic_stack 0
		.amdhsa_system_sgpr_private_segment_wavefront_offset 0
		.amdhsa_system_sgpr_workgroup_id_x 1
		.amdhsa_system_sgpr_workgroup_id_y 0
		.amdhsa_system_sgpr_workgroup_id_z 0
		.amdhsa_system_sgpr_workgroup_info 0
		.amdhsa_system_vgpr_workitem_id 0
		.amdhsa_next_free_vgpr 141
		.amdhsa_next_free_sgpr 16
		.amdhsa_reserve_vcc 1
		.amdhsa_reserve_flat_scratch 0
		.amdhsa_float_round_mode_32 0
		.amdhsa_float_round_mode_16_64 0
		.amdhsa_float_denorm_mode_32 3
		.amdhsa_float_denorm_mode_16_64 3
		.amdhsa_dx10_clamp 1
		.amdhsa_ieee_mode 1
		.amdhsa_fp16_overflow 0
		.amdhsa_workgroup_processor_mode 1
		.amdhsa_memory_ordered 1
		.amdhsa_forward_progress 0
		.amdhsa_shared_vgpr_count 0
		.amdhsa_exception_fp_ieee_invalid_op 0
		.amdhsa_exception_fp_denorm_src 0
		.amdhsa_exception_fp_ieee_div_zero 0
		.amdhsa_exception_fp_ieee_overflow 0
		.amdhsa_exception_fp_ieee_underflow 0
		.amdhsa_exception_fp_ieee_inexact 0
		.amdhsa_exception_int_div_zero 0
	.end_amdhsa_kernel
	.text
.Lfunc_end0:
	.size	bluestein_single_fwd_len819_dim1_sp_op_CI_CI, .Lfunc_end0-bluestein_single_fwd_len819_dim1_sp_op_CI_CI
                                        ; -- End function
	.section	.AMDGPU.csdata,"",@progbits
; Kernel info:
; codeLenInByte = 12108
; NumSgprs: 18
; NumVgprs: 141
; ScratchSize: 0
; MemoryBound: 0
; FloatMode: 240
; IeeeMode: 1
; LDSByteSize: 6552 bytes/workgroup (compile time only)
; SGPRBlocks: 2
; VGPRBlocks: 17
; NumSGPRsForWavesPerEU: 18
; NumVGPRsForWavesPerEU: 141
; Occupancy: 7
; WaveLimiterHint : 1
; COMPUTE_PGM_RSRC2:SCRATCH_EN: 0
; COMPUTE_PGM_RSRC2:USER_SGPR: 6
; COMPUTE_PGM_RSRC2:TRAP_HANDLER: 0
; COMPUTE_PGM_RSRC2:TGID_X_EN: 1
; COMPUTE_PGM_RSRC2:TGID_Y_EN: 0
; COMPUTE_PGM_RSRC2:TGID_Z_EN: 0
; COMPUTE_PGM_RSRC2:TIDIG_COMP_CNT: 0
	.text
	.p2alignl 6, 3214868480
	.fill 48, 4, 3214868480
	.type	__hip_cuid_73f398b9bfa4f295,@object ; @__hip_cuid_73f398b9bfa4f295
	.section	.bss,"aw",@nobits
	.globl	__hip_cuid_73f398b9bfa4f295
__hip_cuid_73f398b9bfa4f295:
	.byte	0                               ; 0x0
	.size	__hip_cuid_73f398b9bfa4f295, 1

	.ident	"AMD clang version 19.0.0git (https://github.com/RadeonOpenCompute/llvm-project roc-6.4.0 25133 c7fe45cf4b819c5991fe208aaa96edf142730f1d)"
	.section	".note.GNU-stack","",@progbits
	.addrsig
	.addrsig_sym __hip_cuid_73f398b9bfa4f295
	.amdgpu_metadata
---
amdhsa.kernels:
  - .args:
      - .actual_access:  read_only
        .address_space:  global
        .offset:         0
        .size:           8
        .value_kind:     global_buffer
      - .actual_access:  read_only
        .address_space:  global
        .offset:         8
        .size:           8
        .value_kind:     global_buffer
      - .actual_access:  read_only
        .address_space:  global
        .offset:         16
        .size:           8
        .value_kind:     global_buffer
      - .actual_access:  read_only
        .address_space:  global
        .offset:         24
        .size:           8
        .value_kind:     global_buffer
      - .actual_access:  read_only
        .address_space:  global
        .offset:         32
        .size:           8
        .value_kind:     global_buffer
      - .offset:         40
        .size:           8
        .value_kind:     by_value
      - .address_space:  global
        .offset:         48
        .size:           8
        .value_kind:     global_buffer
      - .address_space:  global
        .offset:         56
        .size:           8
        .value_kind:     global_buffer
      - .address_space:  global
        .offset:         64
        .size:           8
        .value_kind:     global_buffer
      - .address_space:  global
        .offset:         72
        .size:           8
        .value_kind:     global_buffer
      - .offset:         80
        .size:           4
        .value_kind:     by_value
      - .address_space:  global
        .offset:         88
        .size:           8
        .value_kind:     global_buffer
      - .address_space:  global
        .offset:         96
        .size:           8
        .value_kind:     global_buffer
    .group_segment_fixed_size: 6552
    .kernarg_segment_align: 8
    .kernarg_segment_size: 104
    .language:       OpenCL C
    .language_version:
      - 2
      - 0
    .max_flat_workgroup_size: 117
    .name:           bluestein_single_fwd_len819_dim1_sp_op_CI_CI
    .private_segment_fixed_size: 0
    .sgpr_count:     18
    .sgpr_spill_count: 0
    .symbol:         bluestein_single_fwd_len819_dim1_sp_op_CI_CI.kd
    .uniform_work_group_size: 1
    .uses_dynamic_stack: false
    .vgpr_count:     141
    .vgpr_spill_count: 0
    .wavefront_size: 32
    .workgroup_processor_mode: 1
amdhsa.target:   amdgcn-amd-amdhsa--gfx1030
amdhsa.version:
  - 1
  - 2
...

	.end_amdgpu_metadata
